;; amdgpu-corpus repo=ROCm/rocFFT kind=compiled arch=gfx1030 opt=O3
	.text
	.amdgcn_target "amdgcn-amd-amdhsa--gfx1030"
	.amdhsa_code_object_version 6
	.protected	fft_rtc_back_len595_factors_7_17_5_wgs_51_tpt_17_halfLds_half_ip_CI_sbrr_dirReg ; -- Begin function fft_rtc_back_len595_factors_7_17_5_wgs_51_tpt_17_halfLds_half_ip_CI_sbrr_dirReg
	.globl	fft_rtc_back_len595_factors_7_17_5_wgs_51_tpt_17_halfLds_half_ip_CI_sbrr_dirReg
	.p2align	8
	.type	fft_rtc_back_len595_factors_7_17_5_wgs_51_tpt_17_halfLds_half_ip_CI_sbrr_dirReg,@function
fft_rtc_back_len595_factors_7_17_5_wgs_51_tpt_17_halfLds_half_ip_CI_sbrr_dirReg: ; @fft_rtc_back_len595_factors_7_17_5_wgs_51_tpt_17_halfLds_half_ip_CI_sbrr_dirReg
; %bb.0:
	s_clause 0x1
	s_load_dwordx2 s[14:15], s[4:5], 0x18
	s_load_dwordx4 s[8:11], s[4:5], 0x0
	v_mul_u32_u24_e32 v1, 0xf10, v0
	v_mov_b32_e32 v5, 0
	v_mov_b32_e32 v3, 0
	v_mov_b32_e32 v4, 0
	s_load_dwordx2 s[12:13], s[4:5], 0x50
	s_waitcnt lgkmcnt(0)
	s_load_dwordx2 s[2:3], s[14:15], 0x0
	v_lshrrev_b32_e32 v1, 16, v1
	v_cmp_lt_u64_e64 s0, s[10:11], 2
	v_mad_u64_u32 v[1:2], null, s6, 3, v[1:2]
	v_mov_b32_e32 v2, v5
	s_and_b32 vcc_lo, exec_lo, s0
	v_mov_b32_e32 v10, v2
	v_mov_b32_e32 v9, v1
	s_cbranch_vccnz .LBB0_8
; %bb.1:
	s_load_dwordx2 s[0:1], s[4:5], 0x10
	v_mov_b32_e32 v3, 0
	v_mov_b32_e32 v8, v2
	s_add_u32 s6, s14, 8
	v_mov_b32_e32 v4, 0
	v_mov_b32_e32 v7, v1
	s_addc_u32 s7, s15, 0
	s_mov_b64 s[18:19], 1
	s_waitcnt lgkmcnt(0)
	s_add_u32 s16, s0, 8
	s_addc_u32 s17, s1, 0
.LBB0_2:                                ; =>This Inner Loop Header: Depth=1
	s_load_dwordx2 s[20:21], s[16:17], 0x0
                                        ; implicit-def: $vgpr9_vgpr10
	s_mov_b32 s0, exec_lo
	s_waitcnt lgkmcnt(0)
	v_or_b32_e32 v6, s21, v8
	v_cmpx_ne_u64_e32 0, v[5:6]
	s_xor_b32 s1, exec_lo, s0
	s_cbranch_execz .LBB0_4
; %bb.3:                                ;   in Loop: Header=BB0_2 Depth=1
	v_cvt_f32_u32_e32 v2, s20
	v_cvt_f32_u32_e32 v6, s21
	s_sub_u32 s0, 0, s20
	s_subb_u32 s22, 0, s21
	v_fmac_f32_e32 v2, 0x4f800000, v6
	v_rcp_f32_e32 v2, v2
	v_mul_f32_e32 v2, 0x5f7ffffc, v2
	v_mul_f32_e32 v6, 0x2f800000, v2
	v_trunc_f32_e32 v6, v6
	v_fmac_f32_e32 v2, 0xcf800000, v6
	v_cvt_u32_f32_e32 v6, v6
	v_cvt_u32_f32_e32 v2, v2
	v_mul_lo_u32 v9, s0, v6
	v_mul_hi_u32 v10, s0, v2
	v_mul_lo_u32 v11, s22, v2
	v_add_nc_u32_e32 v9, v10, v9
	v_mul_lo_u32 v10, s0, v2
	v_add_nc_u32_e32 v9, v9, v11
	v_mul_hi_u32 v11, v2, v10
	v_mul_lo_u32 v12, v2, v9
	v_mul_hi_u32 v13, v2, v9
	v_mul_hi_u32 v14, v6, v10
	v_mul_lo_u32 v10, v6, v10
	v_mul_hi_u32 v15, v6, v9
	v_mul_lo_u32 v9, v6, v9
	v_add_co_u32 v11, vcc_lo, v11, v12
	v_add_co_ci_u32_e32 v12, vcc_lo, 0, v13, vcc_lo
	v_add_co_u32 v10, vcc_lo, v11, v10
	v_add_co_ci_u32_e32 v10, vcc_lo, v12, v14, vcc_lo
	v_add_co_ci_u32_e32 v11, vcc_lo, 0, v15, vcc_lo
	v_add_co_u32 v9, vcc_lo, v10, v9
	v_add_co_ci_u32_e32 v10, vcc_lo, 0, v11, vcc_lo
	v_add_co_u32 v2, vcc_lo, v2, v9
	v_add_co_ci_u32_e32 v6, vcc_lo, v6, v10, vcc_lo
	v_mul_hi_u32 v9, s0, v2
	v_mul_lo_u32 v11, s22, v2
	v_mul_lo_u32 v10, s0, v6
	v_add_nc_u32_e32 v9, v9, v10
	v_mul_lo_u32 v10, s0, v2
	v_add_nc_u32_e32 v9, v9, v11
	v_mul_hi_u32 v11, v2, v10
	v_mul_lo_u32 v12, v2, v9
	v_mul_hi_u32 v13, v2, v9
	v_mul_hi_u32 v14, v6, v10
	v_mul_lo_u32 v10, v6, v10
	v_mul_hi_u32 v15, v6, v9
	v_mul_lo_u32 v9, v6, v9
	v_add_co_u32 v11, vcc_lo, v11, v12
	v_add_co_ci_u32_e32 v12, vcc_lo, 0, v13, vcc_lo
	v_add_co_u32 v10, vcc_lo, v11, v10
	v_add_co_ci_u32_e32 v10, vcc_lo, v12, v14, vcc_lo
	v_add_co_ci_u32_e32 v11, vcc_lo, 0, v15, vcc_lo
	v_add_co_u32 v9, vcc_lo, v10, v9
	v_add_co_ci_u32_e32 v10, vcc_lo, 0, v11, vcc_lo
	v_add_co_u32 v2, vcc_lo, v2, v9
	v_add_co_ci_u32_e32 v6, vcc_lo, v6, v10, vcc_lo
	v_mul_hi_u32 v15, v7, v2
	v_mad_u64_u32 v[11:12], null, v8, v2, 0
	v_mad_u64_u32 v[9:10], null, v7, v6, 0
	v_mad_u64_u32 v[13:14], null, v8, v6, 0
	v_add_co_u32 v2, vcc_lo, v15, v9
	v_add_co_ci_u32_e32 v6, vcc_lo, 0, v10, vcc_lo
	v_add_co_u32 v2, vcc_lo, v2, v11
	v_add_co_ci_u32_e32 v2, vcc_lo, v6, v12, vcc_lo
	v_add_co_ci_u32_e32 v6, vcc_lo, 0, v14, vcc_lo
	v_add_co_u32 v2, vcc_lo, v2, v13
	v_add_co_ci_u32_e32 v6, vcc_lo, 0, v6, vcc_lo
	v_mul_lo_u32 v11, s21, v2
	v_mad_u64_u32 v[9:10], null, s20, v2, 0
	v_mul_lo_u32 v12, s20, v6
	v_sub_co_u32 v9, vcc_lo, v7, v9
	v_add3_u32 v10, v10, v12, v11
	v_sub_nc_u32_e32 v11, v8, v10
	v_subrev_co_ci_u32_e64 v11, s0, s21, v11, vcc_lo
	v_add_co_u32 v12, s0, v2, 2
	v_add_co_ci_u32_e64 v13, s0, 0, v6, s0
	v_sub_co_u32 v14, s0, v9, s20
	v_sub_co_ci_u32_e32 v10, vcc_lo, v8, v10, vcc_lo
	v_subrev_co_ci_u32_e64 v11, s0, 0, v11, s0
	v_cmp_le_u32_e32 vcc_lo, s20, v14
	v_cmp_eq_u32_e64 s0, s21, v10
	v_cndmask_b32_e64 v14, 0, -1, vcc_lo
	v_cmp_le_u32_e32 vcc_lo, s21, v11
	v_cndmask_b32_e64 v15, 0, -1, vcc_lo
	v_cmp_le_u32_e32 vcc_lo, s20, v9
	;; [unrolled: 2-line block ×3, first 2 shown]
	v_cndmask_b32_e64 v16, 0, -1, vcc_lo
	v_cmp_eq_u32_e32 vcc_lo, s21, v11
	v_cndmask_b32_e64 v9, v16, v9, s0
	v_cndmask_b32_e32 v11, v15, v14, vcc_lo
	v_add_co_u32 v14, vcc_lo, v2, 1
	v_add_co_ci_u32_e32 v15, vcc_lo, 0, v6, vcc_lo
	v_cmp_ne_u32_e32 vcc_lo, 0, v11
	v_cndmask_b32_e32 v10, v15, v13, vcc_lo
	v_cndmask_b32_e32 v11, v14, v12, vcc_lo
	v_cmp_ne_u32_e32 vcc_lo, 0, v9
	v_cndmask_b32_e32 v10, v6, v10, vcc_lo
	v_cndmask_b32_e32 v9, v2, v11, vcc_lo
.LBB0_4:                                ;   in Loop: Header=BB0_2 Depth=1
	s_andn2_saveexec_b32 s0, s1
	s_cbranch_execz .LBB0_6
; %bb.5:                                ;   in Loop: Header=BB0_2 Depth=1
	v_cvt_f32_u32_e32 v2, s20
	s_sub_i32 s1, 0, s20
	v_rcp_iflag_f32_e32 v2, v2
	v_mul_f32_e32 v2, 0x4f7ffffe, v2
	v_cvt_u32_f32_e32 v2, v2
	v_mul_lo_u32 v6, s1, v2
	v_mul_hi_u32 v6, v2, v6
	v_add_nc_u32_e32 v2, v2, v6
	v_mul_hi_u32 v2, v7, v2
	v_mul_lo_u32 v6, v2, s20
	v_add_nc_u32_e32 v9, 1, v2
	v_sub_nc_u32_e32 v6, v7, v6
	v_subrev_nc_u32_e32 v10, s20, v6
	v_cmp_le_u32_e32 vcc_lo, s20, v6
	v_cndmask_b32_e32 v6, v6, v10, vcc_lo
	v_cndmask_b32_e32 v2, v2, v9, vcc_lo
	v_mov_b32_e32 v10, v5
	v_cmp_le_u32_e32 vcc_lo, s20, v6
	v_add_nc_u32_e32 v9, 1, v2
	v_cndmask_b32_e32 v9, v2, v9, vcc_lo
.LBB0_6:                                ;   in Loop: Header=BB0_2 Depth=1
	s_or_b32 exec_lo, exec_lo, s0
	s_load_dwordx2 s[0:1], s[6:7], 0x0
	v_mul_lo_u32 v2, v10, s20
	v_mul_lo_u32 v6, v9, s21
	v_mad_u64_u32 v[11:12], null, v9, s20, 0
	s_add_u32 s18, s18, 1
	s_addc_u32 s19, s19, 0
	s_add_u32 s6, s6, 8
	s_addc_u32 s7, s7, 0
	s_add_u32 s16, s16, 8
	s_addc_u32 s17, s17, 0
	v_add3_u32 v2, v12, v6, v2
	v_sub_co_u32 v6, vcc_lo, v7, v11
	v_sub_co_ci_u32_e32 v2, vcc_lo, v8, v2, vcc_lo
	s_waitcnt lgkmcnt(0)
	v_mul_lo_u32 v7, s1, v6
	v_mul_lo_u32 v2, s0, v2
	v_mad_u64_u32 v[3:4], null, s0, v6, v[3:4]
	v_cmp_ge_u64_e64 s0, s[18:19], s[10:11]
	s_and_b32 vcc_lo, exec_lo, s0
	v_add3_u32 v4, v7, v4, v2
	s_cbranch_vccnz .LBB0_8
; %bb.7:                                ;   in Loop: Header=BB0_2 Depth=1
	v_mov_b32_e32 v7, v9
	v_mov_b32_e32 v8, v10
	s_branch .LBB0_2
.LBB0_8:
	s_lshl_b64 s[0:1], s[10:11], 3
	v_mul_hi_u32 v2, 0xf0f0f10, v0
	s_add_u32 s0, s14, s0
	s_addc_u32 s1, s15, s1
	s_load_dwordx2 s[4:5], s[4:5], 0x20
	s_load_dwordx2 s[0:1], s[0:1], 0x0
                                        ; implicit-def: $vgpr39
                                        ; implicit-def: $vgpr12
                                        ; implicit-def: $vgpr13
                                        ; implicit-def: $vgpr8
	v_mul_u32_u24_e32 v2, 17, v2
	v_sub_nc_u32_e32 v36, v0, v2
	v_add_nc_u32_e32 v31, 17, v36
	v_add_nc_u32_e32 v28, 34, v36
	;; [unrolled: 1-line block ×4, first 2 shown]
	s_waitcnt lgkmcnt(0)
	v_cmp_gt_u64_e32 vcc_lo, s[4:5], v[9:10]
	v_mul_lo_u32 v0, s0, v10
	v_mul_lo_u32 v5, s1, v9
	v_mad_u64_u32 v[2:3], null, s0, v9, v[3:4]
	v_cmp_le_u64_e64 s0, s[4:5], v[9:10]
                                        ; implicit-def: $sgpr4
	v_add3_u32 v3, v5, v3, v0
	s_and_saveexec_b32 s1, s0
	s_xor_b32 s0, exec_lo, s1
; %bb.9:
	v_add_nc_u32_e32 v39, 17, v36
	v_add_nc_u32_e32 v12, 34, v36
	;; [unrolled: 1-line block ×4, first 2 shown]
	s_mov_b32 s4, 0
; %bb.10:
	s_or_saveexec_b32 s1, s0
	v_lshlrev_b64 v[20:21], 2, v[2:3]
	v_mov_b32_e32 v76, s4
	v_add_nc_u32_e32 v25, 0x55, v36
	v_add_nc_u32_e32 v32, 0xff, v36
	;; [unrolled: 1-line block ×10, first 2 shown]
	v_mov_b32_e32 v75, s4
	v_mov_b32_e32 v80, s4
	;; [unrolled: 1-line block ×19, first 2 shown]
                                        ; implicit-def: $vgpr98
                                        ; implicit-def: $vgpr95
                                        ; implicit-def: $vgpr99
                                        ; implicit-def: $vgpr94
                                        ; implicit-def: $vgpr92
                                        ; implicit-def: $vgpr86
                                        ; implicit-def: $vgpr90
                                        ; implicit-def: $vgpr97
                                        ; implicit-def: $vgpr96
                                        ; implicit-def: $vgpr100
                                        ; implicit-def: $vgpr69
                                        ; implicit-def: $vgpr70
                                        ; implicit-def: $vgpr72
                                        ; implicit-def: $vgpr73
                                        ; implicit-def: $vgpr77
                                        ; implicit-def: $vgpr79
                                        ; implicit-def: $vgpr88
                                        ; implicit-def: $vgpr91
                                        ; implicit-def: $vgpr102
                                        ; implicit-def: $vgpr103
	s_xor_b32 exec_lo, exec_lo, s1
	s_cbranch_execz .LBB0_12
; %bb.11:
	v_mad_u64_u32 v[2:3], null, s2, v36, 0
	v_mad_u64_u32 v[4:5], null, s2, v25, 0
	v_add_nc_u32_e32 v12, 0xaa, v36
	v_add_nc_u32_e32 v17, 0x154, v36
	;; [unrolled: 1-line block ×4, first 2 shown]
	v_mov_b32_e32 v0, v3
	v_mad_u64_u32 v[6:7], null, s2, v12, 0
	v_mov_b32_e32 v3, v5
	v_mad_u64_u32 v[14:15], null, s2, v19, 0
	v_mad_u64_u32 v[8:9], null, s3, v36, v[0:1]
	;; [unrolled: 1-line block ×3, first 2 shown]
	v_mov_b32_e32 v0, v7
	v_mad_u64_u32 v[10:11], null, s2, v32, 0
	v_add_nc_u32_e32 v45, 0x110, v36
	v_mov_b32_e32 v3, v8
	v_mad_u64_u32 v[12:13], null, s3, v12, v[0:1]
	v_mov_b32_e32 v5, v9
	v_add_co_u32 v0, s0, s12, v20
	v_mov_b32_e32 v8, v11
	v_lshlrev_b64 v[2:3], 2, v[2:3]
	v_add_co_ci_u32_e64 v16, s0, s13, v21, s0
	v_mov_b32_e32 v7, v12
	v_mad_u64_u32 v[12:13], null, s2, v17, 0
	v_mad_u64_u32 v[8:9], null, s3, v32, v[8:9]
	v_lshlrev_b64 v[4:5], 2, v[4:5]
	v_add_co_u32 v2, s0, v0, v2
	v_lshlrev_b64 v[6:7], 2, v[6:7]
	v_mov_b32_e32 v9, v13
	v_add_co_ci_u32_e64 v3, s0, v16, v3, s0
	v_mov_b32_e32 v11, v8
	v_add_co_u32 v4, s0, v0, v4
	v_mad_u64_u32 v[8:9], null, s3, v17, v[9:10]
	v_lshlrev_b64 v[10:11], 2, v[10:11]
	v_mov_b32_e32 v9, v15
	v_mad_u64_u32 v[17:18], null, s2, v39, 0
	v_add_co_ci_u32_e64 v5, s0, v16, v5, s0
	v_mad_u64_u32 v[22:23], null, s3, v19, v[9:10]
	v_add_co_u32 v6, s0, v0, v6
	v_mov_b32_e32 v13, v8
	v_add_co_ci_u32_e64 v7, s0, v16, v7, s0
	v_add_co_u32 v8, s0, v0, v10
	v_mov_b32_e32 v15, v22
	v_mad_u64_u32 v[22:23], null, s2, v31, 0
	v_add_co_ci_u32_e64 v9, s0, v16, v11, s0
	v_lshlrev_b64 v[10:11], 2, v[12:13]
	v_mov_b32_e32 v12, v18
	v_lshlrev_b64 v[14:15], 2, v[14:15]
	v_add_nc_u32_e32 v51, 0x1ba, v36
	v_add_nc_u32_e32 v63, 0x121, v36
	v_mad_u64_u32 v[61:62], null, s2, v30, 0
	v_mad_u64_u32 v[18:19], null, s3, v39, v[12:13]
	;; [unrolled: 1-line block ×3, first 2 shown]
	v_add_nc_u32_e32 v19, 0xbb, v36
	v_add_co_u32 v12, s0, v0, v10
	v_mov_b32_e32 v10, v23
	v_add_co_ci_u32_e64 v13, s0, v16, v11, s0
	v_mad_u64_u32 v[41:42], null, s2, v19, 0
	v_mad_u64_u32 v[10:11], null, s3, v31, v[10:11]
	v_mov_b32_e32 v11, v40
	v_add_co_u32 v43, s0, v0, v14
	v_add_co_ci_u32_e64 v44, s0, v16, v15, s0
	v_lshlrev_b64 v[14:15], 2, v[17:18]
	v_mad_u64_u32 v[17:18], null, s3, v24, v[11:12]
	v_mov_b32_e32 v18, v42
	v_mov_b32_e32 v23, v10
	v_add_nc_u32_e32 v65, 0x1cb, v36
	v_add_co_u32 v10, s0, v0, v14
	v_mad_u64_u32 v[18:19], null, s3, v19, v[18:19]
	v_add_co_ci_u32_e64 v11, s0, v16, v15, s0
	v_lshlrev_b64 v[14:15], 2, v[22:23]
	v_mad_u64_u32 v[22:23], null, s2, v45, 0
	v_mov_b32_e32 v40, v17
	v_mov_b32_e32 v42, v18
	v_mad_u64_u32 v[18:19], null, s2, v35, 0
	v_add_co_u32 v14, s0, v0, v14
	v_mov_b32_e32 v17, v23
	v_lshlrev_b64 v[39:40], 2, v[39:40]
	v_lshlrev_b64 v[41:42], 2, v[41:42]
	v_add_co_ci_u32_e64 v15, s0, v16, v15, s0
	v_mad_u64_u32 v[45:46], null, s3, v45, v[17:18]
	v_mov_b32_e32 v17, v19
	v_mad_u64_u32 v[46:47], null, s2, v51, 0
	v_add_co_u32 v39, s0, v0, v39
	v_mad_u64_u32 v[48:49], null, s3, v35, v[17:18]
	v_mov_b32_e32 v23, v45
	v_add_nc_u32_e32 v45, 0x20f, v36
	v_mov_b32_e32 v17, v47
	v_add_co_ci_u32_e64 v40, s0, v16, v40, s0
	v_lshlrev_b64 v[22:23], 2, v[22:23]
	v_mad_u64_u32 v[49:50], null, s2, v45, 0
	v_mov_b32_e32 v19, v48
	v_mad_u64_u32 v[47:48], null, s3, v51, v[17:18]
	v_mad_u64_u32 v[51:52], null, s2, v28, 0
	v_lshlrev_b64 v[18:19], 2, v[18:19]
	v_mov_b32_e32 v17, v50
	v_add_co_u32 v41, s0, v0, v41
	v_add_co_ci_u32_e64 v42, s0, v16, v42, s0
	v_mad_u64_u32 v[53:54], null, s3, v45, v[17:18]
	v_add_co_u32 v22, s0, v0, v22
	v_add_co_ci_u32_e64 v23, s0, v16, v23, s0
	v_mad_u64_u32 v[54:55], null, s2, v38, 0
	v_mov_b32_e32 v17, v52
	v_add_co_u32 v18, s0, v0, v18
	v_mov_b32_e32 v50, v53
	v_add_nc_u32_e32 v53, 0xcc, v36
	v_lshlrev_b64 v[45:46], 2, v[46:47]
	v_mad_u64_u32 v[47:48], null, s3, v28, v[17:18]
	v_mov_b32_e32 v17, v55
	v_mad_u64_u32 v[56:57], null, s2, v53, 0
	v_lshlrev_b64 v[48:49], 2, v[49:50]
	v_add_co_ci_u32_e64 v19, s0, v16, v19, s0
	v_mad_u64_u32 v[58:59], null, s3, v38, v[17:18]
	v_add_co_u32 v45, s0, v0, v45
	v_mov_b32_e32 v52, v47
	v_mad_u64_u32 v[59:60], null, s2, v63, 0
	v_mov_b32_e32 v17, v57
	v_add_co_ci_u32_e64 v46, s0, v16, v46, s0
	v_add_co_u32 v47, s0, v0, v48
	v_add_co_ci_u32_e64 v48, s0, v16, v49, s0
	v_lshlrev_b64 v[49:50], 2, v[51:52]
	v_mad_u64_u32 v[52:53], null, s3, v53, v[17:18]
	v_mov_b32_e32 v51, v60
	v_mov_b32_e32 v55, v58
	;; [unrolled: 1-line block ×3, first 2 shown]
	v_add_co_u32 v49, s0, v0, v49
	v_or_b32_e32 v66, 0x220, v36
	v_mad_u64_u32 v[63:64], null, s3, v63, v[51:52]
	v_lshlrev_b64 v[53:54], 2, v[54:55]
	v_mov_b32_e32 v57, v52
	v_add_co_ci_u32_e64 v50, s0, v16, v50, s0
	v_mad_u64_u32 v[51:52], null, s3, v30, v[17:18]
	v_mov_b32_e32 v60, v63
	v_mad_u64_u32 v[63:64], null, s2, v65, 0
	v_add_co_u32 v52, s0, v0, v53
	v_add_co_ci_u32_e64 v53, s0, v16, v54, s0
	v_lshlrev_b64 v[54:55], 2, v[56:57]
	v_lshlrev_b64 v[56:57], 2, v[59:60]
	v_mad_u64_u32 v[58:59], null, s2, v66, 0
	v_mov_b32_e32 v17, v64
	v_mov_b32_e32 v62, v51
	v_add_nc_u32_e32 v71, 0x132, v36
	v_add_nc_u32_e32 v77, 0xdd, v36
	;; [unrolled: 1-line block ×3, first 2 shown]
	v_mad_u64_u32 v[64:65], null, s3, v65, v[17:18]
	v_mov_b32_e32 v17, v59
	v_lshlrev_b64 v[60:61], 2, v[61:62]
	v_mad_u64_u32 v[73:74], null, s2, v78, 0
	v_mad_u64_u32 v[75:76], null, s2, v34, 0
	;; [unrolled: 1-line block ×4, first 2 shown]
	v_lshlrev_b64 v[62:63], 2, v[63:64]
	v_add_co_u32 v54, s0, v0, v54
	v_add_co_ci_u32_e64 v55, s0, v16, v55, s0
	v_mov_b32_e32 v59, v65
	v_mov_b32_e32 v17, v67
	v_mad_u64_u32 v[64:65], null, s2, v33, 0
	v_add_co_u32 v56, s0, v0, v56
	v_mad_u64_u32 v[67:68], null, s3, v27, v[17:18]
	v_mad_u64_u32 v[68:69], null, s2, v71, 0
	v_mov_b32_e32 v17, v65
	v_add_co_ci_u32_e64 v57, s0, v16, v57, s0
	v_add_co_u32 v60, s0, v0, v60
	v_lshlrev_b64 v[58:59], 2, v[58:59]
	v_mov_b32_e32 v51, v69
	v_mad_u64_u32 v[69:70], null, s3, v33, v[17:18]
	v_add_co_ci_u32_e64 v61, s0, v16, v61, s0
	v_mad_u64_u32 v[70:71], null, s3, v71, v[51:52]
	v_mad_u64_u32 v[71:72], null, s2, v77, 0
	v_mov_b32_e32 v51, v74
	v_mov_b32_e32 v65, v69
	v_add_nc_u32_e32 v85, 0x99, v36
	v_add_co_u32 v62, s0, v0, v62
	v_mov_b32_e32 v69, v70
	v_mov_b32_e32 v17, v72
	;; [unrolled: 1-line block ×3, first 2 shown]
	v_lshlrev_b64 v[66:67], 2, v[66:67]
	v_add_co_ci_u32_e64 v63, s0, v16, v63, s0
	v_mad_u64_u32 v[76:77], null, s3, v77, v[17:18]
	v_mad_u64_u32 v[77:78], null, s3, v78, v[51:52]
	;; [unrolled: 1-line block ×3, first 2 shown]
	v_add_nc_u32_e32 v70, 0x231, v36
	v_mad_u64_u32 v[79:80], null, s2, v26, 0
	v_mov_b32_e32 v72, v76
	v_mov_b32_e32 v74, v77
	v_add_co_u32 v58, s0, v0, v58
	v_mov_b32_e32 v76, v78
	v_mad_u64_u32 v[77:78], null, s2, v70, 0
	v_lshlrev_b64 v[68:69], 2, v[68:69]
	v_mov_b32_e32 v51, v80
	v_add_co_ci_u32_e64 v59, s0, v16, v59, s0
	v_add_co_u32 v66, s0, v0, v66
	v_mov_b32_e32 v17, v78
	v_lshlrev_b64 v[73:74], 2, v[73:74]
	v_add_co_ci_u32_e64 v67, s0, v16, v67, s0
	v_add_co_u32 v68, s0, v0, v68
	v_mad_u64_u32 v[80:81], null, s3, v70, v[17:18]
	v_mad_u64_u32 v[81:82], null, s2, v85, 0
	v_lshlrev_b64 v[75:76], 2, v[75:76]
	v_mad_u64_u32 v[83:84], null, s3, v26, v[51:52]
	v_add_co_ci_u32_e64 v69, s0, v16, v69, s0
	v_add_co_u32 v73, s0, v0, v73
	v_mov_b32_e32 v78, v80
	v_mov_b32_e32 v17, v82
	v_add_co_ci_u32_e64 v74, s0, v16, v74, s0
	v_add_co_u32 v86, s0, v0, v75
	v_add_co_ci_u32_e64 v87, s0, v16, v76, s0
	v_mov_b32_e32 v80, v83
	v_lshlrev_b64 v[75:76], 2, v[77:78]
	v_mad_u64_u32 v[77:78], null, s3, v85, v[17:18]
	v_mad_u64_u32 v[83:84], null, s2, v37, 0
	v_add_nc_u32_e32 v70, 0x143, v36
	v_add_nc_u32_e32 v85, 0x198, v36
	v_add_co_u32 v88, s0, v0, v75
	v_mov_b32_e32 v82, v77
	v_mad_u64_u32 v[77:78], null, s2, v70, 0
	v_mov_b32_e32 v17, v84
	v_mad_u64_u32 v[90:91], null, s2, v85, 0
	v_add_co_ci_u32_e64 v89, s0, v16, v76, s0
	v_lshlrev_b64 v[75:76], 2, v[79:80]
	v_mad_u64_u32 v[79:80], null, s3, v37, v[17:18]
	v_mov_b32_e32 v17, v78
	v_mov_b32_e32 v51, v91
	v_lshlrev_b64 v[64:65], 2, v[64:65]
	v_add_co_u32 v92, s0, v0, v75
	v_add_co_ci_u32_e64 v93, s0, v16, v76, s0
	v_mov_b32_e32 v84, v79
	v_mad_u64_u32 v[78:79], null, s3, v70, v[17:18]
	v_add_nc_u32_e32 v70, 0x242, v36
	v_mad_u64_u32 v[79:80], null, s3, v85, v[51:52]
	v_lshlrev_b64 v[75:76], 2, v[81:82]
	v_mad_u64_u32 v[80:81], null, s2, v29, 0
	v_mad_u64_u32 v[94:95], null, s2, v70, 0
	v_lshlrev_b64 v[77:78], 2, v[77:78]
	v_add_co_u32 v96, s0, v0, v75
	v_add_co_ci_u32_e64 v97, s0, v16, v76, s0
	v_mov_b32_e32 v17, v81
	v_mov_b32_e32 v51, v95
	v_lshlrev_b64 v[75:76], 2, v[83:84]
	v_mov_b32_e32 v91, v79
	v_mad_u64_u32 v[81:82], null, s3, v29, v[17:18]
	v_mad_u64_u32 v[82:83], null, s3, v70, v[51:52]
	v_add_co_u32 v98, s0, v0, v75
	v_add_co_ci_u32_e64 v99, s0, v16, v76, s0
	v_lshlrev_b64 v[75:76], 2, v[90:91]
	v_add_co_u32 v100, s0, v0, v77
	v_mov_b32_e32 v95, v82
	v_add_co_ci_u32_e64 v101, s0, v16, v78, s0
	v_lshlrev_b64 v[77:78], 2, v[80:81]
	v_add_co_u32 v102, s0, v0, v75
	v_add_co_ci_u32_e64 v103, s0, v16, v76, s0
	v_lshlrev_b64 v[75:76], 2, v[94:95]
	v_add_co_u32 v94, s0, v0, v77
	v_add_co_ci_u32_e64 v95, s0, v16, v78, s0
	v_add_co_u32 v104, s0, v0, v75
	v_add_co_ci_u32_e64 v105, s0, v16, v76, s0
	s_clause 0x1a
	global_load_dword v75, v[2:3], off
	global_load_dword v76, v[4:5], off
	;; [unrolled: 1-line block ×27, first 2 shown]
	v_lshlrev_b64 v[8:9], 2, v[71:72]
	v_add_co_u32 v12, s0, v0, v64
	v_add_co_ci_u32_e64 v13, s0, v16, v65, s0
	s_clause 0x2
	global_load_dword v96, v[47:48], off
	global_load_dword v95, v[10:11], off
	;; [unrolled: 1-line block ×3, first 2 shown]
	v_add_co_u32 v8, s0, v0, v8
	v_add_co_ci_u32_e64 v9, s0, v16, v9, s0
	s_clause 0x4
	global_load_dword v71, v[49:50], off
	global_load_dword v89, v[52:53], off
	;; [unrolled: 1-line block ×5, first 2 shown]
	v_mov_b32_e32 v8, v26
	v_mov_b32_e32 v13, v27
	;; [unrolled: 1-line block ×3, first 2 shown]
	s_waitcnt vmcnt(29)
	v_lshrrev_b32_e32 v98, 16, v43
	v_perm_b32 v102, v43, v17, 0x5040100
	s_waitcnt vmcnt(24)
	v_lshrrev_b32_e32 v100, 16, v18
	v_perm_b32 v88, v18, v22, 0x5040100
	;; [unrolled: 3-line block ×4, first 2 shown]
	s_waitcnt vmcnt(16)
	v_perm_b32 v73, v90, v39, 0x7060302
	v_mov_b32_e32 v39, v31
	s_waitcnt vmcnt(10)
	v_lshrrev_b32_e32 v86, 16, v42
	v_perm_b32 v69, v42, v41, 0x5040100
	s_waitcnt vmcnt(9)
	v_perm_b32 v70, v92, v41, 0x7060302
	s_waitcnt vmcnt(8)
	;; [unrolled: 2-line block ×4, first 2 shown]
	v_perm_b32 v103, v95, v17, 0x7060302
.LBB0_12:
	s_or_b32 exec_lo, exec_lo, s1
	v_mul_hi_u32 v0, 0xaaaaaaab, v1
	v_perm_b32 v106, v83, v7, 0x5040100
	v_add_f16_e32 v9, v95, v76
	v_perm_b32 v107, v76, v7, 0x7060302
	v_sub_f16_sdwa v10, v83, v98 dst_sel:DWORD dst_unused:UNUSED_PAD src0_sel:WORD_1 src1_sel:DWORD
	v_add_f16_e32 v14, v96, v80
	v_pk_add_f16 v7, v102, v106
	v_perm_b32 v108, v80, v6, 0x7060302
	v_lshrrev_b32_e32 v0, 1, v0
	v_pk_add_f16 v11, v107, v103 neg_lo:[0,1] neg_hi:[0,1]
	v_sub_f16_sdwa v15, v85, v100 dst_sel:DWORD dst_unused:UNUSED_PAD src0_sel:WORD_1 src1_sel:DWORD
	v_alignbit_b32 v19, v9, v7, 16
	v_add_f16_sdwa v22, v9, v7 dst_sel:DWORD dst_unused:UNUSED_PAD src0_sel:DWORD src1_sel:WORD_1
	v_lshl_add_u32 v0, v0, 1, v0
	v_sub_f16_e32 v9, v9, v7
	v_add_f16_e32 v23, v10, v11
	v_perm_b32 v109, v84, v5, 0x5040100
	s_waitcnt vmcnt(3)
	v_add_f16_e32 v16, v94, v89
	v_sub_nc_u32_e32 v0, v1, v0
	v_pk_add_f16 v1, v7, v19 neg_lo:[0,1] neg_hi:[0,1]
	v_pack_b32_f16 v19, v10, v11
	v_add_f16_e32 v7, v22, v7
	v_mul_f16_e32 v22, 0xba52, v9
	v_sub_f16_sdwa v10, v10, v11 dst_sel:DWORD dst_unused:UNUSED_PAD src0_sel:DWORD src1_sel:WORD_1
	v_pk_mul_f16 v40, 0x39e02b26, v1
	v_add_f16_sdwa v23, v11, v23 dst_sel:DWORD dst_unused:UNUSED_PAD src0_sel:WORD_1 src1_sel:DWORD
	v_pk_add_f16 v11, v11, v19 neg_lo:[0,1] neg_hi:[0,1]
	v_add_f16_e32 v19, v7, v75
	v_mul_f16_e32 v10, 0xbb00, v10
	v_alignbit_b32 v22, v22, v40, 16
	v_mul_u32_u24_e32 v0, 0x253, v0
	v_pk_mul_f16 v42, 0xb5743846, v11
	v_mul_f16_e32 v41, 0xb70e, v23
	v_fmamk_f16 v7, v7, 0xbcab, v19
	v_pk_fma_f16 v1, 0x39e02b26, v1, v22 neg_lo:[0,1,0] neg_hi:[0,1,0]
	v_pk_fma_f16 v10, 0xb5743846, v11, v10 op_sel_hi:[1,1,0] neg_lo:[0,1,0] neg_hi:[0,1,1]
	v_fmamk_f16 v9, v9, 0x3a52, v40
	v_add_f16_sdwa v22, v42, v42 dst_sel:DWORD dst_unused:UNUSED_PAD src0_sel:WORD_1 src1_sel:DWORD
	v_lshlrev_b32_e32 v0, 1, v0
	v_pk_add_f16 v1, v1, v7 op_sel_hi:[1,0]
	v_pk_add_f16 v10, v10, v41 op_sel_hi:[1,0]
	v_add_f16_e32 v7, v9, v7
	v_fmac_f16_e32 v22, 0xb70e, v23
	v_add_nc_u32_e32 v68, 0, v0
	v_perm_b32 v111, v89, v5, 0x7060302
	v_pk_add_f16 v9, v1, v10
	v_pk_add_f16 v10, v1, v10 neg_lo:[0,1] neg_hi:[0,1]
	v_add_f16_e32 v41, v7, v22
	v_perm_b32 v1, v85, v6, 0x5040100
	v_mad_u32_u24 v81, v36, 14, v68
	v_sub_f16_e32 v7, v7, v22
	v_bfi_b32 v11, 0xffff, v9, v10
	v_alignbit_b32 v10, v10, v9, 16
	v_pack_b32_f16 v9, v19, v41
	v_pk_add_f16 v6, v88, v1
	v_pk_add_f16 v22, v108, v91 neg_lo:[0,1] neg_hi:[0,1]
	ds_write_b16 v81, v7 offset:12
	v_sub_f16_sdwa v17, v84, v99 dst_sel:DWORD dst_unused:UNUSED_PAD src0_sel:WORD_1 src1_sel:DWORD
	ds_write_b96 v81, v[9:11]
	v_alignbit_b32 v9, v14, v6, 16
	v_add_f16_sdwa v7, v14, v6 dst_sel:DWORD dst_unused:UNUSED_PAD src0_sel:DWORD src1_sel:WORD_1
	v_pack_b32_f16 v10, v15, v22
	v_sub_f16_e32 v11, v14, v6
	v_add_f16_e32 v14, v15, v22
	v_pk_add_f16 v9, v6, v9 neg_lo:[0,1] neg_hi:[0,1]
	v_add_f16_e32 v6, v7, v6
	v_pk_add_f16 v7, v22, v10 neg_lo:[0,1] neg_hi:[0,1]
	v_mul_f16_e32 v10, 0xba52, v11
	v_sub_f16_sdwa v15, v15, v22 dst_sel:DWORD dst_unused:UNUSED_PAD src0_sel:DWORD src1_sel:WORD_1
	v_pk_mul_f16 v41, 0x39e02b26, v9
	v_add_f16_e32 v42, v6, v74
	v_add_f16_sdwa v14, v22, v14 dst_sel:DWORD dst_unused:UNUSED_PAD src0_sel:WORD_1 src1_sel:DWORD
	v_pk_mul_f16 v22, 0xb5743846, v7
	v_mul_f16_e32 v15, 0xbb00, v15
	v_alignbit_b32 v10, v10, v41, 16
	v_fmamk_f16 v6, v6, 0xbcab, v42
	v_fmamk_f16 v11, v11, 0x3a52, v41
	v_mul_f16_e32 v41, 0xb70e, v14
	v_pk_fma_f16 v7, 0xb5743846, v7, v15 op_sel_hi:[1,1,0] neg_lo:[0,1,0] neg_hi:[0,1,1]
	v_pk_fma_f16 v9, 0x39e02b26, v9, v10 neg_lo:[0,1,0] neg_hi:[0,1,0]
	v_add_f16_sdwa v10, v22, v22 dst_sel:DWORD dst_unused:UNUSED_PAD src0_sel:WORD_1 src1_sel:DWORD
	v_add_f16_e32 v11, v11, v6
	v_pk_add_f16 v15, v111, v79 neg_lo:[0,1] neg_hi:[0,1]
	v_pk_add_f16 v7, v7, v41 op_sel_hi:[1,0]
	v_pk_add_f16 v6, v9, v6 op_sel_hi:[1,0]
	v_pk_add_f16 v9, v77, v109
	v_fmac_f16_e32 v10, 0xb70e, v14
	v_add_f16_e32 v22, v17, v15
	v_pack_b32_f16 v41, v17, v15
	v_pk_add_f16 v14, v6, v7
	v_pk_add_f16 v6, v6, v7 neg_lo:[0,1] neg_hi:[0,1]
	v_alignbit_b32 v7, v16, v9, 16
	v_add_f16_e32 v5, v11, v10
	v_sub_f16_e32 v10, v11, v10
	v_add_f16_sdwa v11, v16, v9 dst_sel:DWORD dst_unused:UNUSED_PAD src0_sel:DWORD src1_sel:WORD_1
	v_sub_f16_e32 v16, v16, v9
	v_pk_add_f16 v7, v9, v7 neg_lo:[0,1] neg_hi:[0,1]
	v_sub_f16_sdwa v17, v17, v15 dst_sel:DWORD dst_unused:UNUSED_PAD src0_sel:DWORD src1_sel:WORD_1
	v_add_f16_sdwa v22, v15, v22 dst_sel:DWORD dst_unused:UNUSED_PAD src0_sel:WORD_1 src1_sel:DWORD
	v_add_f16_e32 v9, v11, v9
	v_mul_f16_e32 v11, 0xba52, v16
	v_pk_mul_f16 v43, 0x39e02b26, v7
	v_pk_add_f16 v15, v15, v41 neg_lo:[0,1] neg_hi:[0,1]
	v_mul_f16_e32 v17, 0xbb00, v17
	v_add_f16_e32 v41, v9, v71
	v_mul_f16_e32 v44, 0xb70e, v22
	v_alignbit_b32 v11, v11, v43, 16
	v_pk_mul_f16 v45, 0xb5743846, v15
	v_pk_fma_f16 v15, 0xb5743846, v15, v17 op_sel_hi:[1,1,0] neg_lo:[0,1,0] neg_hi:[0,1,1]
	v_fmamk_f16 v9, v9, 0xbcab, v41
	v_fmamk_f16 v16, v16, 0x3a52, v43
	v_pk_fma_f16 v11, 0x39e02b26, v7, v11 neg_lo:[0,1,0] neg_hi:[0,1,0]
	v_add_f16_sdwa v17, v45, v45 dst_sel:DWORD dst_unused:UNUSED_PAD src0_sel:WORD_1 src1_sel:DWORD
	v_mad_i32_i24 v101, v39, 14, v68
	v_bfi_b32 v7, 0xffff, v14, v6
	v_pk_add_f16 v15, v15, v44 op_sel_hi:[1,0]
	v_pk_add_f16 v11, v11, v9 op_sel_hi:[1,0]
	v_alignbit_b32 v6, v6, v14, 16
	v_pack_b32_f16 v5, v42, v5
	v_add_f16_e32 v9, v16, v9
	v_fmac_f16_e32 v17, 0xb70e, v22
	v_pk_add_f16 v14, v11, v15
	v_pk_add_f16 v11, v11, v15 neg_lo:[0,1] neg_hi:[0,1]
	ds_write_b96 v101, v[5:7]
	s_waitcnt vmcnt(0)
	v_perm_b32 v112, v93, v4, 0x5040100
	v_add_f16_e32 v7, v9, v17
	v_add_f16_e32 v18, v90, v87
	v_mad_i32_i24 v104, v12, 14, v68
	v_bfi_b32 v6, 0xffff, v14, v11
	v_alignbit_b32 v5, v11, v14, 16
	v_perm_b32 v113, v87, v4, 0x7060302
	v_pack_b32_f16 v4, v41, v7
	v_pk_add_f16 v7, v72, v112
	v_sub_f16_e32 v9, v9, v17
	ds_write_b16 v101, v10 offset:12
	v_sub_f16_sdwa v40, v93, v97 dst_sel:DWORD dst_unused:UNUSED_PAD src0_sel:WORD_1 src1_sel:DWORD
	ds_write_b96 v104, v[4:6]
	v_alignbit_b32 v4, v18, v7, 16
	v_pk_add_f16 v10, v113, v73 neg_lo:[0,1] neg_hi:[0,1]
	ds_write_b16 v104, v9 offset:12
	v_add_f16_sdwa v5, v18, v7 dst_sel:DWORD dst_unused:UNUSED_PAD src0_sel:DWORD src1_sel:WORD_1
	v_sub_f16_e32 v9, v18, v7
	v_pk_add_f16 v4, v7, v4 neg_lo:[0,1] neg_hi:[0,1]
	v_pack_b32_f16 v11, v40, v10
	v_add_f16_e32 v6, v40, v10
	v_add_f16_e32 v5, v5, v7
	v_mul_f16_e32 v7, 0xba52, v9
	v_pk_mul_f16 v14, 0x39e02b26, v4
	v_pk_add_f16 v11, v10, v11 neg_lo:[0,1] neg_hi:[0,1]
	v_add_f16_sdwa v6, v10, v6 dst_sel:DWORD dst_unused:UNUSED_PAD src0_sel:WORD_1 src1_sel:DWORD
	v_add_f16_e32 v15, v5, v53
	v_sub_f16_sdwa v10, v40, v10 dst_sel:DWORD dst_unused:UNUSED_PAD src0_sel:DWORD src1_sel:WORD_1
	v_alignbit_b32 v7, v7, v14, 16
	v_pk_mul_f16 v17, 0xb5743846, v11
	v_fmamk_f16 v9, v9, 0x3a52, v14
	v_fmamk_f16 v5, v5, 0xbcab, v15
	v_perm_b32 v116, v78, v3, 0x5040100
	v_pk_fma_f16 v4, 0x39e02b26, v4, v7 neg_lo:[0,1,0] neg_hi:[0,1,0]
	v_add_f16_e32 v23, v92, v82
	v_mul_f16_e32 v10, 0xbb00, v10
	v_add_f16_sdwa v7, v17, v17 dst_sel:DWORD dst_unused:UNUSED_PAD src0_sel:WORD_1 src1_sel:DWORD
	v_add_f16_e32 v9, v9, v5
	v_pk_add_f16 v4, v4, v5 op_sel_hi:[1,0]
	v_pk_add_f16 v5, v69, v116
	v_mul_f16_e32 v16, 0xb70e, v6
	v_pk_fma_f16 v10, 0xb5743846, v11, v10 op_sel_hi:[1,1,0] neg_lo:[0,1,0] neg_hi:[0,1,1]
	v_fmac_f16_e32 v7, 0xb70e, v6
	v_perm_b32 v117, v82, v3, 0x7060302
	v_alignbit_b32 v6, v23, v5, 16
	v_sub_f16_sdwa v19, v78, v86 dst_sel:DWORD dst_unused:UNUSED_PAD src0_sel:WORD_1 src1_sel:DWORD
	v_pk_add_f16 v3, v10, v16 op_sel_hi:[1,0]
	v_add_f16_sdwa v16, v23, v5 dst_sel:DWORD dst_unused:UNUSED_PAD src0_sel:DWORD src1_sel:WORD_1
	v_pk_add_f16 v11, v117, v70 neg_lo:[0,1] neg_hi:[0,1]
	v_pk_add_f16 v6, v5, v6 neg_lo:[0,1] neg_hi:[0,1]
	v_sub_f16_e32 v17, v23, v5
	v_pk_add_f16 v14, v4, v3
	v_add_f16_e32 v5, v16, v5
	v_add_f16_e32 v18, v19, v11
	v_pack_b32_f16 v22, v19, v11
	v_pk_mul_f16 v16, 0x39e02b26, v6
	v_mul_f16_e32 v23, 0xba52, v17
	v_sub_f16_sdwa v19, v19, v11 dst_sel:DWORD dst_unused:UNUSED_PAD src0_sel:DWORD src1_sel:WORD_1
	v_add_f16_sdwa v18, v11, v18 dst_sel:DWORD dst_unused:UNUSED_PAD src0_sel:WORD_1 src1_sel:DWORD
	v_pk_add_f16 v11, v11, v22 neg_lo:[0,1] neg_hi:[0,1]
	v_add_f16_e32 v22, v5, v2
	v_alignbit_b32 v23, v23, v16, 16
	v_mul_f16_e32 v19, 0xbb00, v19
	v_mul_f16_e32 v40, 0xb70e, v18
	v_pk_mul_f16 v41, 0xb5743846, v11
	v_fmamk_f16 v5, v5, 0xbcab, v22
	v_pk_fma_f16 v6, 0x39e02b26, v6, v23 neg_lo:[0,1,0] neg_hi:[0,1,0]
	v_pk_fma_f16 v11, 0xb5743846, v11, v19 op_sel_hi:[1,1,0] neg_lo:[0,1,0] neg_hi:[0,1,1]
	v_pk_add_f16 v3, v4, v3 neg_lo:[0,1] neg_hi:[0,1]
	v_fmamk_f16 v4, v17, 0x3a52, v16
	v_add_f16_sdwa v16, v41, v41 dst_sel:DWORD dst_unused:UNUSED_PAD src0_sel:WORD_1 src1_sel:DWORD
	v_pk_add_f16 v6, v6, v5 op_sel_hi:[1,0]
	v_pk_add_f16 v11, v11, v40 op_sel_hi:[1,0]
	v_add_f16_e32 v10, v9, v7
	v_sub_f16_e32 v7, v9, v7
	v_add_f16_e32 v17, v4, v5
	v_fmac_f16_e32 v16, 0xb70e, v18
	v_pk_add_f16 v9, v6, v11
	v_pk_add_f16 v6, v6, v11 neg_lo:[0,1] neg_hi:[0,1]
	v_bfi_b32 v5, 0xffff, v14, v3
	v_alignbit_b32 v4, v3, v14, 16
	v_pack_b32_f16 v3, v15, v10
	v_add_f16_e32 v14, v17, v16
	v_bfi_b32 v11, 0xffff, v9, v6
	v_alignbit_b32 v10, v6, v9, 16
	v_lshlrev_b32_e32 v6, 1, v36
	v_mad_i32_i24 v105, v13, 14, v68
	v_mad_i32_i24 v110, v8, 14, v68
	v_pack_b32_f16 v9, v22, v14
	v_sub_f16_e32 v67, v17, v16
	v_add_nc_u32_e32 v41, v68, v6
	v_add3_u32 v40, 0, v6, v0
	ds_write_b96 v105, v[3:5]
	ds_write_b16 v105, v7 offset:12
	ds_write_b96 v110, v[9:11]
	ds_write_b16 v110, v67 offset:12
	s_waitcnt lgkmcnt(0)
	s_barrier
	buffer_gl0_inv
	ds_read_u16 v114, v41
	ds_read_u16 v63, v40 offset:70
	ds_read_u16 v3, v40 offset:104
	;; [unrolled: 1-line block ×3, first 2 shown]
	v_lshl_add_u32 v42, v39, 1, v68
	ds_read_u16 v64, v40 offset:280
	ds_read_u16 v4, v40 offset:244
	;; [unrolled: 1-line block ×28, first 2 shown]
	ds_read_u16 v115, v42
	ds_read_u16 v44, v40 offset:1154
	v_cmp_eq_u32_e64 s0, 0, v36
                                        ; implicit-def: $vgpr45
                                        ; implicit-def: $vgpr47
                                        ; implicit-def: $vgpr51
                                        ; implicit-def: $vgpr132
                                        ; implicit-def: $vgpr133
                                        ; implicit-def: $vgpr134
                                        ; implicit-def: $vgpr135
                                        ; implicit-def: $vgpr136
                                        ; implicit-def: $vgpr55
                                        ; implicit-def: $vgpr56
                                        ; implicit-def: $vgpr52
                                        ; implicit-def: $vgpr48
                                        ; implicit-def: $vgpr137
                                        ; implicit-def: $vgpr138
                                        ; implicit-def: $vgpr139
                                        ; implicit-def: $vgpr140
	s_and_saveexec_b32 s1, s0
	s_cbranch_execz .LBB0_14
; %bb.13:
	ds_read_u16 v67, v68 offset:68
	ds_read_u16 v45, v68 offset:138
	;; [unrolled: 1-line block ×17, first 2 shown]
.LBB0_14:
	s_or_b32 exec_lo, exec_lo, s1
	v_add_f16_sdwa v83, v98, v83 dst_sel:DWORD dst_unused:UNUSED_PAD src0_sel:DWORD src1_sel:WORD_1
	v_sub_f16_e32 v89, v89, v94
	v_pk_add_f16 v94, v103, v107
	v_sub_f16_e32 v76, v76, v95
	v_sub_f16_e32 v87, v87, v90
	v_add_f16_sdwa v90, v97, v93 dst_sel:DWORD dst_unused:UNUSED_PAD src0_sel:DWORD src1_sel:WORD_1
	v_sub_f16_e32 v82, v82, v92
	v_pk_add_f16 v92, v106, v102 neg_lo:[0,1] neg_hi:[0,1]
	v_add_f16_sdwa v93, v94, v83 dst_sel:DWORD dst_unused:UNUSED_PAD src0_sel:WORD_1 src1_sel:DWORD
	v_sub_f16_e32 v80, v80, v96
	v_sub_f16_sdwa v95, v83, v94 dst_sel:DWORD dst_unused:UNUSED_PAD src0_sel:DWORD src1_sel:WORD_1
	v_sub_f16_sdwa v96, v94, v94 dst_sel:DWORD dst_unused:UNUSED_PAD src0_sel:WORD_1 src1_sel:DWORD
	v_sub_f16_e32 v83, v94, v83
	v_add_f16_sdwa v97, v92, v92 dst_sel:DWORD dst_unused:UNUSED_PAD src0_sel:WORD_1 src1_sel:DWORD
	v_add_f16_e32 v93, v93, v94
	v_sub_f16_sdwa v94, v92, v92 dst_sel:DWORD dst_unused:UNUSED_PAD src0_sel:DWORD src1_sel:WORD_1
	v_sub_f16_e32 v98, v76, v92
	v_sub_f16_sdwa v92, v92, v76 dst_sel:DWORD dst_unused:UNUSED_PAD src0_sel:WORD_1 src1_sel:DWORD
	v_add_f16_sdwa v84, v99, v84 dst_sel:DWORD dst_unused:UNUSED_PAD src0_sel:DWORD src1_sel:WORD_1
	v_add_f16_e32 v76, v76, v97
	v_add_f16_sdwa v75, v93, v75 dst_sel:DWORD dst_unused:UNUSED_PAD src0_sel:DWORD src1_sel:WORD_1
	v_mul_f16_e32 v83, 0x2b26, v83
	v_mul_f16_e32 v97, 0x3a52, v96
	;; [unrolled: 1-line block ×4, first 2 shown]
	v_add_f16_sdwa v85, v100, v85 dst_sel:DWORD dst_unused:UNUSED_PAD src0_sel:DWORD src1_sel:WORD_1
	v_fmamk_f16 v93, v93, 0xbcab, v75
	v_fmamk_f16 v96, v96, 0x3a52, v83
	v_fma_f16 v83, v95, 0x39e0, -v83
	v_fma_f16 v95, v95, 0xb9e0, -v97
	v_fmamk_f16 v97, v98, 0xb574, v94
	v_fma_f16 v98, v98, 0x3574, -v99
	v_fma_f16 v92, v92, 0xbb00, -v94
	v_pk_add_f16 v91, v91, v108
	v_add_f16_e32 v95, v95, v93
	v_add_f16_e32 v83, v83, v93
	v_fmac_f16_e32 v98, 0xb70e, v76
	v_fmac_f16_e32 v92, 0xb70e, v76
	v_pk_add_f16 v1, v1, v88 neg_lo:[0,1] neg_hi:[0,1]
	v_add_f16_sdwa v88, v91, v85 dst_sel:DWORD dst_unused:UNUSED_PAD src0_sel:WORD_1 src1_sel:DWORD
	v_add_f16_e32 v94, v96, v93
	v_fmac_f16_e32 v97, 0xb70e, v76
	v_add_f16_sdwa v76, v86, v78 dst_sel:DWORD dst_unused:UNUSED_PAD src0_sel:DWORD src1_sel:WORD_1
	v_sub_f16_e32 v86, v95, v98
	v_add_f16_e32 v93, v92, v83
	v_sub_f16_e32 v83, v83, v92
	v_add_f16_e32 v92, v98, v95
	v_sub_f16_sdwa v95, v85, v91 dst_sel:DWORD dst_unused:UNUSED_PAD src0_sel:DWORD src1_sel:WORD_1
	v_sub_f16_sdwa v96, v91, v91 dst_sel:DWORD dst_unused:UNUSED_PAD src0_sel:WORD_1 src1_sel:DWORD
	v_sub_f16_e32 v85, v91, v85
	v_add_f16_sdwa v98, v1, v1 dst_sel:DWORD dst_unused:UNUSED_PAD src0_sel:WORD_1 src1_sel:DWORD
	v_add_f16_e32 v88, v88, v91
	v_sub_f16_sdwa v91, v1, v1 dst_sel:DWORD dst_unused:UNUSED_PAD src0_sel:DWORD src1_sel:WORD_1
	v_sub_f16_e32 v99, v80, v1
	v_sub_f16_sdwa v1, v1, v80 dst_sel:DWORD dst_unused:UNUSED_PAD src0_sel:WORD_1 src1_sel:DWORD
	v_add_f16_e32 v80, v80, v98
	v_add_f16_sdwa v98, v88, v74 dst_sel:DWORD dst_unused:UNUSED_PAD src0_sel:DWORD src1_sel:WORD_1
	v_mul_f16_e32 v74, 0x2b26, v85
	v_mul_f16_e32 v91, 0x3846, v91
	;; [unrolled: 1-line block ×4, first 2 shown]
	v_fmamk_f16 v88, v88, 0xbcab, v98
	v_fmamk_f16 v96, v96, 0x3a52, v74
	v_fma_f16 v74, v95, 0x39e0, -v74
	v_fma_f16 v1, v1, 0xbb00, -v91
	;; [unrolled: 1-line block ×3, first 2 shown]
	v_fmamk_f16 v95, v99, 0xb574, v91
	v_fma_f16 v99, v99, 0x3574, -v100
	v_add_f16_e32 v74, v74, v88
	v_fmac_f16_e32 v1, 0xb70e, v80
	v_pk_add_f16 v79, v79, v111
	v_add_f16_e32 v91, v96, v88
	v_add_f16_e32 v85, v85, v88
	v_fmac_f16_e32 v99, 0xb70e, v80
	v_add_f16_e32 v96, v1, v74
	v_sub_f16_e32 v74, v74, v1
	v_pk_add_f16 v1, v109, v77 neg_lo:[0,1] neg_hi:[0,1]
	v_add_f16_sdwa v77, v79, v84 dst_sel:DWORD dst_unused:UNUSED_PAD src0_sel:WORD_1 src1_sel:DWORD
	v_sub_f16_e32 v78, v94, v97
	v_fmac_f16_e32 v95, 0xb70e, v80
	v_add_f16_e32 v80, v97, v94
	v_sub_f16_e32 v94, v85, v99
	v_add_f16_e32 v85, v99, v85
	v_sub_f16_sdwa v97, v84, v79 dst_sel:DWORD dst_unused:UNUSED_PAD src0_sel:DWORD src1_sel:WORD_1
	v_sub_f16_sdwa v99, v79, v79 dst_sel:DWORD dst_unused:UNUSED_PAD src0_sel:WORD_1 src1_sel:DWORD
	v_sub_f16_e32 v84, v79, v84
	v_add_f16_sdwa v100, v1, v1 dst_sel:DWORD dst_unused:UNUSED_PAD src0_sel:WORD_1 src1_sel:DWORD
	v_add_f16_e32 v77, v77, v79
	v_sub_f16_sdwa v79, v1, v1 dst_sel:DWORD dst_unused:UNUSED_PAD src0_sel:DWORD src1_sel:WORD_1
	v_sub_f16_e32 v102, v89, v1
	v_sub_f16_sdwa v1, v1, v89 dst_sel:DWORD dst_unused:UNUSED_PAD src0_sel:WORD_1 src1_sel:DWORD
	v_add_f16_e32 v89, v89, v100
	v_add_f16_sdwa v100, v77, v71 dst_sel:DWORD dst_unused:UNUSED_PAD src0_sel:DWORD src1_sel:WORD_1
	v_mul_f16_e32 v71, 0x2b26, v84
	v_mul_f16_e32 v79, 0x3846, v79
	;; [unrolled: 1-line block ×4, first 2 shown]
	v_fmamk_f16 v77, v77, 0xbcab, v100
	v_fmamk_f16 v99, v99, 0x3a52, v71
	v_fma_f16 v71, v97, 0x39e0, -v71
	v_fma_f16 v1, v1, 0xbb00, -v79
	;; [unrolled: 1-line block ×3, first 2 shown]
	v_fmamk_f16 v97, v102, 0xb574, v79
	v_fma_f16 v102, v102, 0x3574, -v103
	v_add_f16_e32 v71, v71, v77
	v_fmac_f16_e32 v1, 0xb70e, v89
	v_pk_add_f16 v73, v73, v113
	v_sub_f16_e32 v88, v91, v95
	v_add_f16_e32 v79, v99, v77
	v_add_f16_e32 v84, v84, v77
	v_fmac_f16_e32 v102, 0xb70e, v89
	v_add_f16_e32 v77, v95, v91
	v_add_f16_e32 v95, v1, v71
	v_sub_f16_e32 v99, v71, v1
	v_pk_add_f16 v1, v112, v72 neg_lo:[0,1] neg_hi:[0,1]
	v_add_f16_sdwa v71, v73, v90 dst_sel:DWORD dst_unused:UNUSED_PAD src0_sel:WORD_1 src1_sel:DWORD
	v_sub_f16_e32 v91, v84, v102
	v_add_f16_e32 v84, v102, v84
	v_sub_f16_sdwa v72, v90, v73 dst_sel:DWORD dst_unused:UNUSED_PAD src0_sel:DWORD src1_sel:WORD_1
	v_sub_f16_sdwa v102, v73, v73 dst_sel:DWORD dst_unused:UNUSED_PAD src0_sel:WORD_1 src1_sel:DWORD
	v_sub_f16_e32 v90, v73, v90
	v_add_f16_e32 v71, v71, v73
	v_sub_f16_sdwa v73, v1, v1 dst_sel:DWORD dst_unused:UNUSED_PAD src0_sel:DWORD src1_sel:WORD_1
	v_add_f16_sdwa v103, v1, v1 dst_sel:DWORD dst_unused:UNUSED_PAD src0_sel:WORD_1 src1_sel:DWORD
	v_sub_f16_e32 v106, v87, v1
	v_sub_f16_sdwa v1, v1, v87 dst_sel:DWORD dst_unused:UNUSED_PAD src0_sel:WORD_1 src1_sel:DWORD
	v_add_f16_sdwa v53, v71, v53 dst_sel:DWORD dst_unused:UNUSED_PAD src0_sel:DWORD src1_sel:WORD_1
	v_mul_f16_e32 v90, 0x2b26, v90
	v_mul_f16_e32 v73, 0x3846, v73
	v_add_f16_e32 v87, v87, v103
	v_mul_f16_e32 v103, 0x3a52, v102
	v_mul_f16_e32 v107, 0xbb00, v1
	v_fmamk_f16 v71, v71, 0xbcab, v53
	v_fmamk_f16 v102, v102, 0x3a52, v90
	v_fma_f16 v90, v72, 0x39e0, -v90
	v_fma_f16 v1, v1, 0xbb00, -v73
	v_pk_add_f16 v70, v70, v117
	v_fma_f16 v72, v72, 0xb9e0, -v103
	v_fmamk_f16 v103, v106, 0xb574, v73
	v_add_f16_e32 v90, v90, v71
	v_fmac_f16_e32 v1, 0xb70e, v87
	v_fma_f16 v73, v106, 0x3574, -v107
	v_add_f16_e32 v102, v102, v71
	v_add_f16_e32 v71, v72, v71
	v_sub_f16_sdwa v72, v76, v70 dst_sel:DWORD dst_unused:UNUSED_PAD src0_sel:DWORD src1_sel:WORD_1
	v_add_f16_e32 v106, v1, v90
	v_sub_f16_e32 v90, v90, v1
	v_pk_add_f16 v1, v116, v69 neg_lo:[0,1] neg_hi:[0,1]
	v_add_f16_sdwa v69, v70, v76 dst_sel:DWORD dst_unused:UNUSED_PAD src0_sel:WORD_1 src1_sel:DWORD
	v_sub_f16_sdwa v107, v70, v70 dst_sel:DWORD dst_unused:UNUSED_PAD src0_sel:WORD_1 src1_sel:DWORD
	v_sub_f16_e32 v76, v70, v76
	v_fmac_f16_e32 v97, 0xb70e, v89
	v_add_f16_sdwa v108, v1, v1 dst_sel:DWORD dst_unused:UNUSED_PAD src0_sel:WORD_1 src1_sel:DWORD
	v_add_f16_e32 v69, v69, v70
	v_sub_f16_sdwa v70, v1, v1 dst_sel:DWORD dst_unused:UNUSED_PAD src0_sel:DWORD src1_sel:WORD_1
	v_sub_f16_e32 v109, v82, v1
	v_sub_f16_sdwa v1, v1, v82 dst_sel:DWORD dst_unused:UNUSED_PAD src0_sel:WORD_1 src1_sel:DWORD
	v_add_f16_e32 v82, v82, v108
	v_add_f16_sdwa v2, v69, v2 dst_sel:DWORD dst_unused:UNUSED_PAD src0_sel:DWORD src1_sel:WORD_1
	v_mul_f16_e32 v76, 0x2b26, v76
	v_mul_f16_e32 v108, 0x3a52, v107
	v_mul_f16_e32 v70, 0x3846, v70
	v_mul_f16_e32 v111, 0xbb00, v1
	v_fmamk_f16 v69, v69, 0xbcab, v2
	v_fmamk_f16 v107, v107, 0x3a52, v76
	v_fma_f16 v76, v72, 0x39e0, -v76
	v_fma_f16 v72, v72, 0xb9e0, -v108
	v_fmamk_f16 v108, v109, 0xb574, v70
	v_fma_f16 v1, v1, 0xbb00, -v70
	v_fma_f16 v70, v109, 0x3574, -v111
	v_fmac_f16_e32 v73, 0xb70e, v87
	v_add_f16_e32 v107, v107, v69
	v_add_f16_e32 v76, v76, v69
	;; [unrolled: 1-line block ×3, first 2 shown]
	v_fmac_f16_e32 v70, 0xb70e, v82
	v_fmac_f16_e32 v103, 0xb70e, v87
	;; [unrolled: 1-line block ×4, first 2 shown]
	v_sub_f16_e32 v89, v79, v97
	v_add_f16_e32 v79, v97, v79
	v_sub_f16_e32 v97, v71, v73
	v_add_f16_e32 v82, v73, v71
	;; [unrolled: 2-line block ×3, first 2 shown]
	v_pack_b32_f16 v71, v83, v92
	v_pack_b32_f16 v70, v86, v93
	;; [unrolled: 1-line block ×3, first 2 shown]
	v_sub_f16_e32 v87, v102, v103
	v_pack_b32_f16 v74, v74, v85
	v_pack_b32_f16 v73, v94, v96
	;; [unrolled: 1-line block ×3, first 2 shown]
	v_add_f16_e32 v102, v103, v102
	v_sub_f16_e32 v103, v107, v108
	v_add_f16_e32 v111, v1, v76
	v_sub_f16_e32 v76, v76, v1
	s_waitcnt lgkmcnt(0)
	s_barrier
	buffer_gl0_inv
	ds_write_b96 v81, v[69:71]
	ds_write_b16 v81, v80 offset:12
	ds_write_b96 v101, v[72:74]
	ds_write_b16 v101, v77 offset:12
	v_pack_b32_f16 v71, v99, v84
	v_pack_b32_f16 v70, v91, v95
	;; [unrolled: 1-line block ×9, first 2 shown]
	v_add_f16_e32 v1, v108, v107
	ds_write_b96 v104, v[69:71]
	ds_write_b16 v104, v79 offset:12
	ds_write_b96 v105, v[72:74]
	ds_write_b16 v105, v102 offset:12
	;; [unrolled: 2-line block ×3, first 2 shown]
	s_waitcnt lgkmcnt(0)
	s_barrier
	buffer_gl0_inv
	ds_read_u16 v83, v41
	ds_read_u16 v78, v40 offset:70
	ds_read_u16 v79, v40 offset:104
	;; [unrolled: 1-line block ×31, first 2 shown]
	ds_read_u16 v53, v42
	ds_read_u16 v100, v40 offset:1154
                                        ; implicit-def: $vgpr145
                                        ; implicit-def: $vgpr146
                                        ; implicit-def: $vgpr147
                                        ; implicit-def: $vgpr148
                                        ; implicit-def: $vgpr149
                                        ; implicit-def: $vgpr150
                                        ; implicit-def: $vgpr151
                                        ; implicit-def: $vgpr152
                                        ; implicit-def: $vgpr141
                                        ; implicit-def: $vgpr142
                                        ; implicit-def: $vgpr143
                                        ; implicit-def: $vgpr144
                                        ; implicit-def: $vgpr153
                                        ; implicit-def: $vgpr154
                                        ; implicit-def: $vgpr156
                                        ; implicit-def: $vgpr157
	s_and_saveexec_b32 s1, s0
	s_cbranch_execz .LBB0_16
; %bb.15:
	ds_read_u16 v1, v68 offset:68
	ds_read_u16 v145, v68 offset:138
	;; [unrolled: 1-line block ×17, first 2 shown]
.LBB0_16:
	s_or_b32 exec_lo, exec_lo, s1
	v_and_b32_e32 v2, 0xff, v36
	v_mov_b32_e32 v86, 6
	v_mul_lo_u16 v2, v2, 37
	v_lshrrev_b16 v2, 8, v2
	v_sub_nc_u16 v68, v36, v2
	v_lshrrev_b16 v68, 1, v68
	v_and_b32_e32 v68, 0x7f, v68
	v_add_nc_u16 v2, v68, v2
	v_lshrrev_b16 v128, 2, v2
	v_and_b32_e32 v2, 0xff, v39
	v_mul_lo_u16 v68, v128, 7
	v_mul_lo_u16 v2, v2, 37
	v_sub_nc_u16 v131, v36, v68
	v_lshrrev_b16 v2, 8, v2
	v_lshlrev_b32_sdwa v68, v86, v131 dst_sel:DWORD dst_unused:UNUSED_PAD src0_sel:DWORD src1_sel:BYTE_0
	v_sub_nc_u16 v88, v39, v2
	s_clause 0x3
	global_load_dwordx4 v[160:163], v68, s[8:9]
	global_load_dwordx4 v[164:167], v68, s[8:9] offset:16
	global_load_dwordx4 v[168:171], v68, s[8:9] offset:32
	;; [unrolled: 1-line block ×3, first 2 shown]
	v_and_b32_e32 v68, 0xff, v12
	v_lshrrev_b16 v88, 1, v88
	v_mul_lo_u16 v68, v68, 37
	v_and_b32_e32 v88, 0x7f, v88
	v_lshrrev_b16 v68, 8, v68
	v_add_nc_u16 v2, v88, v2
	v_sub_nc_u16 v88, v12, v68
	v_lshrrev_b16 v130, 2, v2
	v_lshrrev_b16 v88, 1, v88
	v_mul_lo_u16 v2, v130, 7
	v_and_b32_e32 v130, 0xffff, v130
	v_and_b32_e32 v88, 0x7f, v88
	v_sub_nc_u16 v129, v39, v2
	v_mad_u32_u24 v130, 0xee, v130, 0
	v_add_nc_u16 v68, v88, v68
	v_lshlrev_b32_sdwa v2, v86, v129 dst_sel:DWORD dst_unused:UNUSED_PAD src0_sel:DWORD src1_sel:BYTE_0
	v_lshrrev_b16 v68, 2, v68
	s_clause 0x3
	global_load_dwordx4 v[176:179], v2, s[8:9]
	global_load_dwordx4 v[180:183], v2, s[8:9] offset:16
	global_load_dwordx4 v[184:187], v2, s[8:9] offset:32
	;; [unrolled: 1-line block ×3, first 2 shown]
	v_mul_lo_u16 v68, v68, 7
	v_sub_nc_u16 v2, v12, v68
	v_lshlrev_b32_sdwa v68, v86, v2 dst_sel:DWORD dst_unused:UNUSED_PAD src0_sel:DWORD src1_sel:BYTE_0
	s_clause 0x3
	global_load_dwordx4 v[192:195], v68, s[8:9]
	global_load_dwordx4 v[196:199], v68, s[8:9] offset:16
	global_load_dwordx4 v[200:203], v68, s[8:9] offset:32
	;; [unrolled: 1-line block ×3, first 2 shown]
	s_waitcnt vmcnt(0) lgkmcnt(0)
	s_barrier
	buffer_gl0_inv
	v_mul_f16_sdwa v120, v74, v161 dst_sel:DWORD dst_unused:UNUSED_PAD src0_sel:DWORD src1_sel:WORD_1
	v_mul_f16_sdwa v86, v61, v161 dst_sel:DWORD dst_unused:UNUSED_PAD src0_sel:DWORD src1_sel:WORD_1
	;; [unrolled: 1-line block ×10, first 2 shown]
	v_fmac_f16_e32 v120, v61, v161
	v_fma_f16 v121, v74, v161, -v86
	v_mul_f16_sdwa v161, v7, v175 dst_sel:DWORD dst_unused:UNUSED_PAD src0_sel:DWORD src1_sel:WORD_1
	v_mul_f16_sdwa v102, v66, v162 dst_sel:DWORD dst_unused:UNUSED_PAD src0_sel:DWORD src1_sel:WORD_1
	;; [unrolled: 1-line block ×7, first 2 shown]
	v_fmac_f16_e32 v125, v63, v160
	v_fma_f16 v126, v78, v160, -v68
	v_mul_f16_sdwa v68, v18, v173 dst_sel:DWORD dst_unused:UNUSED_PAD src0_sel:DWORD src1_sel:WORD_1
	v_mul_f16_sdwa v122, v123, v174 dst_sel:DWORD dst_unused:UNUSED_PAD src0_sel:DWORD src1_sel:WORD_1
	;; [unrolled: 1-line block ×4, first 2 shown]
	v_fmac_f16_e32 v109, v64, v163
	v_fma_f16 v108, v99, v164, -v107
	v_fmac_f16_e32 v96, v60, v166
	v_fma_f16 v99, v93, v166, -v124
	v_fma_f16 v93, v71, v167, -v208
	v_fmac_f16_e32 v116, v18, v173
	v_fma_f16 v124, v95, v175, -v161
	v_mul_f16_sdwa v113, v81, v162 dst_sel:DWORD dst_unused:UNUSED_PAD src0_sel:DWORD src1_sel:WORD_1
	v_mul_f16_sdwa v111, v62, v165 dst_sel:DWORD dst_unused:UNUSED_PAD src0_sel:DWORD src1_sel:WORD_1
	;; [unrolled: 1-line block ×7, first 2 shown]
	v_fma_f16 v118, v81, v162, -v102
	v_mul_f16_sdwa v64, v3, v176 dst_sel:DWORD dst_unused:UNUSED_PAD src0_sel:DWORD src1_sel:WORD_1
	v_mul_f16_sdwa v60, v158, v183 dst_sel:DWORD dst_unused:UNUSED_PAD src0_sel:DWORD src1_sel:WORD_1
	;; [unrolled: 1-line block ×5, first 2 shown]
	v_fmac_f16_e32 v105, v65, v164
	v_fmac_f16_e32 v101, v62, v165
	v_mul_f16_sdwa v65, v72, v181 dst_sel:DWORD dst_unused:UNUSED_PAD src0_sel:DWORD src1_sel:WORD_1
	v_mul_f16_sdwa v166, v23, v181 dst_sel:DWORD dst_unused:UNUSED_PAD src0_sel:DWORD src1_sel:WORD_1
	v_fmac_f16_e32 v88, v50, v167
	v_mul_f16_sdwa v62, v69, v182 dst_sel:DWORD dst_unused:UNUSED_PAD src0_sel:DWORD src1_sel:WORD_1
	v_mul_f16_sdwa v167, v46, v182 dst_sel:DWORD dst_unused:UNUSED_PAD src0_sel:DWORD src1_sel:WORD_1
	v_fmac_f16_e32 v106, v14, v171
	v_fmac_f16_e32 v122, v11, v174
	v_fma_f16 v123, v123, v174, -v160
	v_fmac_f16_e32 v127, v7, v175
	v_mul_f16_sdwa v18, v148, v195 dst_sel:DWORD dst_unused:UNUSED_PAD src0_sel:DWORD src1_sel:WORD_1
	v_mul_f16_sdwa v174, v132, v195 dst_sel:DWORD dst_unused:UNUSED_PAD src0_sel:DWORD src1_sel:WORD_1
	;; [unrolled: 1-line block ×4, first 2 shown]
	v_fma_f16 v95, v79, v176, -v64
	v_fmac_f16_e32 v60, v54, v183
	v_mul_f16_sdwa v54, v142, v206 dst_sel:DWORD dst_unused:UNUSED_PAD src0_sel:DWORD src1_sel:WORD_1
	v_fma_f16 v64, v158, v183, -v208
	v_mul_f16_sdwa v158, v56, v206 dst_sel:DWORD dst_unused:UNUSED_PAD src0_sel:DWORD src1_sel:WORD_1
	v_fmac_f16_e32 v18, v132, v195
	v_sub_f16_e32 v132, v126, v124
	v_mul_f16_sdwa v97, v85, v169 dst_sel:DWORD dst_unused:UNUSED_PAD src0_sel:DWORD src1_sel:WORD_1
	v_mul_f16_sdwa v210, v57, v169 dst_sel:DWORD dst_unused:UNUSED_PAD src0_sel:DWORD src1_sel:WORD_1
	;; [unrolled: 1-line block ×4, first 2 shown]
	v_fmac_f16_e32 v113, v66, v162
	v_fma_f16 v112, v70, v163, -v104
	v_mul_f16_sdwa v162, v5, v177 dst_sel:DWORD dst_unused:UNUSED_PAD src0_sel:DWORD src1_sel:WORD_1
	v_mul_f16_sdwa v78, v84, v178 dst_sel:DWORD dst_unused:UNUSED_PAD src0_sel:DWORD src1_sel:WORD_1
	;; [unrolled: 1-line block ×5, first 2 shown]
	v_fma_f16 v104, v94, v165, -v111
	v_mul_f16_sdwa v165, v17, v180 dst_sel:DWORD dst_unused:UNUSED_PAD src0_sel:DWORD src1_sel:WORD_1
	v_fmac_f16_e32 v89, v59, v168
	v_fma_f16 v94, v91, v168, -v209
	v_mul_f16_sdwa v59, v15, v185 dst_sel:DWORD dst_unused:UNUSED_PAD src0_sel:DWORD src1_sel:WORD_1
	v_fmac_f16_e32 v103, v43, v170
	v_mul_f16_sdwa v71, v155, v187 dst_sel:DWORD dst_unused:UNUSED_PAD src0_sel:DWORD src1_sel:WORD_1
	v_fmac_f16_e32 v110, v49, v172
	v_mul_f16_sdwa v91, v100, v191 dst_sel:DWORD dst_unused:UNUSED_PAD src0_sel:DWORD src1_sel:WORD_1
	v_fma_f16 v119, v119, v173, -v68
	v_mul_f16_sdwa v173, v45, v192 dst_sel:DWORD dst_unused:UNUSED_PAD src0_sel:DWORD src1_sel:WORD_1
	v_mul_f16_sdwa v49, v146, v193 dst_sel:DWORD dst_unused:UNUSED_PAD src0_sel:DWORD src1_sel:WORD_1
	;; [unrolled: 1-line block ×6, first 2 shown]
	v_fmac_f16_e32 v86, v3, v176
	v_mul_f16_sdwa v176, v134, v197 dst_sel:DWORD dst_unused:UNUSED_PAD src0_sel:DWORD src1_sel:WORD_1
	v_fmac_f16_e32 v81, v5, v177
	v_mul_f16_sdwa v5, v151, v198 dst_sel:DWORD dst_unused:UNUSED_PAD src0_sel:DWORD src1_sel:WORD_1
	v_mul_f16_sdwa v3, v152, v199 dst_sel:DWORD dst_unused:UNUSED_PAD src0_sel:DWORD src1_sel:WORD_1
	v_fmac_f16_e32 v65, v23, v181
	v_mul_f16_sdwa v23, v144, v204 dst_sel:DWORD dst_unused:UNUSED_PAD src0_sel:DWORD src1_sel:WORD_1
	v_fma_f16 v72, v72, v181, -v166
	v_mul_f16_sdwa v166, v48, v204 dst_sel:DWORD dst_unused:UNUSED_PAD src0_sel:DWORD src1_sel:WORD_1
	v_fmac_f16_e32 v62, v46, v182
	v_mul_f16_sdwa v46, v143, v205 dst_sel:DWORD dst_unused:UNUSED_PAD src0_sel:DWORD src1_sel:WORD_1
	v_fma_f16 v69, v69, v182, -v167
	v_mul_f16_sdwa v167, v52, v205 dst_sel:DWORD dst_unused:UNUSED_PAD src0_sel:DWORD src1_sel:WORD_1
	v_fmac_f16_e32 v14, v133, v196
	v_fmac_f16_e32 v7, v134, v197
	;; [unrolled: 1-line block ×3, first 2 shown]
	v_fma_f16 v56, v142, v206, -v158
	v_add_f16_e32 v133, v125, v127
	v_sub_f16_e32 v134, v121, v123
	v_mul_f16_e32 v142, 0xb5c8, v132
	v_mul_f16_sdwa v74, v159, v179 dst_sel:DWORD dst_unused:UNUSED_PAD src0_sel:DWORD src1_sel:WORD_1
	v_mul_f16_sdwa v61, v82, v184 dst_sel:DWORD dst_unused:UNUSED_PAD src0_sel:DWORD src1_sel:WORD_1
	;; [unrolled: 1-line block ×4, first 2 shown]
	v_fmac_f16_e32 v97, v57, v169
	v_mul_f16_sdwa v66, v77, v186 dst_sel:DWORD dst_unused:UNUSED_PAD src0_sel:DWORD src1_sel:WORD_1
	v_fma_f16 v102, v85, v169, -v210
	v_fma_f16 v107, v75, v170, -v211
	v_mul_f16_sdwa v169, v58, v187 dst_sel:DWORD dst_unused:UNUSED_PAD src0_sel:DWORD src1_sel:WORD_1
	v_mul_f16_sdwa v75, v87, v188 dst_sel:DWORD dst_unused:UNUSED_PAD src0_sel:DWORD src1_sel:WORD_1
	v_fma_f16 v111, v80, v171, -v212
	v_mul_f16_sdwa v80, v92, v189 dst_sel:DWORD dst_unused:UNUSED_PAD src0_sel:DWORD src1_sel:WORD_1
	v_fma_f16 v117, v117, v172, -v213
	v_mul_f16_sdwa v172, v44, v191 dst_sel:DWORD dst_unused:UNUSED_PAD src0_sel:DWORD src1_sel:WORD_1
	v_mul_f16_sdwa v50, v145, v192 dst_sel:DWORD dst_unused:UNUSED_PAD src0_sel:DWORD src1_sel:WORD_1
	v_fma_f16 v90, v90, v177, -v162
	v_mul_f16_sdwa v162, v135, v198 dst_sel:DWORD dst_unused:UNUSED_PAD src0_sel:DWORD src1_sel:WORD_1
	v_fmac_f16_e32 v78, v4, v178
	v_fma_f16 v84, v84, v178, -v163
	v_mul_f16_sdwa v163, v136, v199 dst_sel:DWORD dst_unused:UNUSED_PAD src0_sel:DWORD src1_sel:WORD_1
	v_fma_f16 v79, v159, v179, -v164
	v_mul_f16_sdwa v164, v139, v201 dst_sel:DWORD dst_unused:UNUSED_PAD src0_sel:DWORD src1_sel:WORD_1
	v_mul_f16_sdwa v11, v154, v202 dst_sel:DWORD dst_unused:UNUSED_PAD src0_sel:DWORD src1_sel:WORD_1
	;; [unrolled: 1-line block ×3, first 2 shown]
	v_fmac_f16_e32 v70, v17, v180
	v_mul_f16_sdwa v17, v153, v203 dst_sel:DWORD dst_unused:UNUSED_PAD src0_sel:DWORD src1_sel:WORD_1
	v_fma_f16 v76, v76, v180, -v165
	v_mul_f16_sdwa v165, v137, v203 dst_sel:DWORD dst_unused:UNUSED_PAD src0_sel:DWORD src1_sel:WORD_1
	v_mul_f16_sdwa v57, v141, v207 dst_sel:DWORD dst_unused:UNUSED_PAD src0_sel:DWORD src1_sel:WORD_1
	;; [unrolled: 1-line block ×3, first 2 shown]
	v_fma_f16 v73, v73, v185, -v59
	v_fmac_f16_e32 v71, v58, v187
	v_fmac_f16_e32 v91, v44, v191
	v_fma_f16 v59, v145, v192, -v173
	v_fmac_f16_e32 v49, v47, v193
	v_fma_f16 v58, v146, v193, -v160
	;; [unrolled: 2-line block ×3, first 2 shown]
	v_fma_f16 v47, v148, v195, -v174
	v_fma_f16 v44, v149, v196, -v175
	v_fmac_f16_e32 v5, v135, v198
	v_fmac_f16_e32 v3, v136, v199
	;; [unrolled: 1-line block ×3, first 2 shown]
	v_fma_f16 v48, v144, v204, -v166
	v_fmac_f16_e32 v46, v52, v205
	v_fma_f16 v52, v143, v205, -v167
	v_add_f16_e32 v135, v120, v122
	v_sub_f16_e32 v136, v118, v119
	v_mul_f16_e32 v143, 0xb964, v132
	v_mul_f16_e32 v144, 0xbb29, v132
	;; [unrolled: 1-line block ×8, first 2 shown]
	v_fmamk_f16 v174, v133, 0x3b76, v142
	v_mul_f16_sdwa v168, v9, v186 dst_sel:DWORD dst_unused:UNUSED_PAD src0_sel:DWORD src1_sel:WORD_1
	v_mul_f16_sdwa v170, v22, v188 dst_sel:DWORD dst_unused:UNUSED_PAD src0_sel:DWORD src1_sel:WORD_1
	;; [unrolled: 1-line block ×4, first 2 shown]
	v_fmac_f16_e32 v74, v6, v179
	v_mul_f16_sdwa v4, v157, v200 dst_sel:DWORD dst_unused:UNUSED_PAD src0_sel:DWORD src1_sel:WORD_1
	v_mul_f16_sdwa v159, v140, v200 dst_sel:DWORD dst_unused:UNUSED_PAD src0_sel:DWORD src1_sel:WORD_1
	;; [unrolled: 1-line block ×3, first 2 shown]
	v_fmac_f16_e32 v61, v19, v184
	v_fma_f16 v68, v82, v184, -v214
	v_fmac_f16_e32 v63, v15, v185
	v_fmac_f16_e32 v66, v9, v186
	v_fma_f16 v82, v155, v187, -v169
	v_fmac_f16_e32 v75, v22, v188
	v_fmac_f16_e32 v80, v16, v189
	;; [unrolled: 1-line block ×3, first 2 shown]
	v_fma_f16 v19, v150, v197, -v176
	v_fma_f16 v15, v151, v198, -v162
	;; [unrolled: 1-line block ×4, first 2 shown]
	v_fmac_f16_e32 v11, v138, v202
	v_fma_f16 v22, v154, v202, -v177
	v_fmac_f16_e32 v17, v137, v203
	v_fma_f16 v45, v153, v203, -v165
	;; [unrolled: 2-line block ×3, first 2 shown]
	v_add_f16_e32 v137, v113, v116
	v_sub_f16_e32 v138, v112, v117
	v_mul_f16_e32 v150, 0xbbf7, v134
	v_mul_f16_e32 v151, 0xba62, v134
	;; [unrolled: 1-line block ×8, first 2 shown]
	v_fma_f16 v142, v133, 0x3b76, -v142
	v_fmamk_f16 v175, v133, 0x39e9, v143
	v_fma_f16 v143, v133, 0x39e9, -v143
	v_fmamk_f16 v176, v133, 0x3722, v144
	;; [unrolled: 2-line block ×8, first 2 shown]
	v_add_f16_e32 v174, v114, v174
	v_mul_f16_sdwa v209, v10, v190 dst_sel:DWORD dst_unused:UNUSED_PAD src0_sel:DWORD src1_sel:WORD_1
	v_fma_f16 v77, v77, v186, -v168
	v_fma_f16 v87, v87, v188, -v170
	v_fmac_f16_e32 v85, v10, v190
	v_fmac_f16_e32 v4, v140, v200
	v_fma_f16 v10, v157, v200, -v159
	v_fmac_f16_e32 v6, v139, v201
	v_add_f16_e32 v139, v109, v110
	v_sub_f16_e32 v140, v108, v111
	v_mul_f16_e32 v157, 0xba62, v136
	v_mul_f16_e32 v158, 0x31e1, v136
	;; [unrolled: 1-line block ×8, first 2 shown]
	v_fma_f16 v149, v135, 0x39e9, -v149
	v_fmamk_f16 v182, v135, 0x2de8, v150
	v_fma_f16 v150, v135, 0x2de8, -v150
	v_fmamk_f16 v183, v135, 0xb8d2, v151
	;; [unrolled: 2-line block ×8, first 2 shown]
	v_add_f16_e32 v142, v114, v142
	v_add_f16_e32 v175, v114, v175
	;; [unrolled: 1-line block ×16, first 2 shown]
	v_fma_f16 v92, v92, v189, -v171
	v_fma_f16 v98, v98, v190, -v209
	;; [unrolled: 1-line block ×3, first 2 shown]
	v_add_f16_e32 v141, v105, v106
	v_mul_f16_e32 v164, 0xb1e1, v138
	v_mul_f16_e32 v165, 0x3bb2, v138
	;; [unrolled: 1-line block ×8, first 2 shown]
	v_fma_f16 v156, v137, 0x3722, -v156
	v_fmamk_f16 v189, v137, 0xb8d2, v157
	v_fma_f16 v157, v137, 0xb8d2, -v157
	v_fmamk_f16 v190, v137, 0xbbdd, v158
	;; [unrolled: 2-line block ×8, first 2 shown]
	v_add_f16_e32 v142, v149, v142
	v_add_f16_e32 v149, v182, v175
	;; [unrolled: 1-line block ×16, first 2 shown]
	v_mul_f16_e32 v173, 0xbb29, v140
	v_fma_f16 v163, v139, 0x2de8, -v163
	v_fmamk_f16 v196, v139, 0xbbdd, v164
	v_fma_f16 v164, v139, 0xbbdd, -v164
	v_fmamk_f16 v197, v139, 0xb461, v165
	;; [unrolled: 2-line block ×8, first 2 shown]
	v_add_f16_e32 v134, v156, v142
	v_add_f16_e32 v135, v189, v149
	v_add_f16_e32 v142, v157, v143
	v_add_f16_e32 v143, v190, v150
	v_add_f16_e32 v144, v158, v144
	v_add_f16_e32 v149, v191, v151
	v_add_f16_e32 v145, v159, v145
	v_add_f16_e32 v150, v192, v152
	v_add_f16_e32 v151, v193, v153
	v_add_f16_e32 v152, v194, v154
	v_add_f16_e32 v153, v195, v155
	v_add_f16_e32 v132, v136, v132
	v_add_f16_e32 v133, v137, v133
	v_add_f16_e32 v146, v160, v146
	v_add_f16_e32 v136, v164, v142
	v_add_f16_e32 v137, v197, v143
	v_add_f16_e32 v142, v165, v144
	v_add_f16_e32 v143, v198, v149
	v_add_f16_e32 v144, v166, v145
	v_add_f16_e32 v145, v199, v150
	v_add_f16_e32 v149, v200, v151
	v_add_f16_e32 v150, v201, v152
	v_add_f16_e32 v151, v202, v153
	v_add_f16_e32 v132, v138, v132
	v_add_f16_e32 v133, v139, v133
	v_mul_f16_e32 v138, 0xb1e1, v140
	v_fmamk_f16 v139, v141, 0x3722, v173
	v_mul_f16_e32 v152, 0x3bf7, v140
	v_fma_f16 v153, v141, 0x3722, -v173
	v_add_f16_e32 v147, v161, v147
	v_add_f16_e32 v146, v167, v146
	v_fmamk_f16 v154, v141, 0xbbdd, v138
	v_add_f16_e32 v139, v139, v143
	v_fma_f16 v138, v141, 0xbbdd, -v138
	v_fmamk_f16 v143, v141, 0x2de8, v152
	v_add_f16_e32 v144, v153, v144
	v_mul_f16_e32 v153, 0xb5c8, v140
	v_mul_f16_e32 v171, 0x3836, v140
	;; [unrolled: 1-line block ×3, first 2 shown]
	v_add_f16_e32 v148, v162, v148
	v_add_f16_e32 v147, v168, v147
	;; [unrolled: 1-line block ×4, first 2 shown]
	v_mul_f16_e32 v140, 0xba62, v140
	v_fma_f16 v146, v141, 0x2de8, -v152
	v_fmamk_f16 v149, v141, 0x3b76, v153
	v_fma_f16 v152, v141, 0x3b76, -v153
	v_sub_f16_e32 v153, v104, v107
	v_fma_f16 v170, v141, 0xb461, -v170
	v_fmamk_f16 v203, v141, 0xbacd, v171
	v_fma_f16 v171, v141, 0xbacd, -v171
	v_fmamk_f16 v204, v141, 0x39e9, v172
	v_fma_f16 v172, v141, 0x39e9, -v172
	v_add_f16_e32 v134, v163, v134
	v_add_f16_e32 v148, v169, v148
	;; [unrolled: 1-line block ×3, first 2 shown]
	v_fmamk_f16 v154, v141, 0xb8d2, v140
	v_fma_f16 v140, v141, 0xb8d2, -v140
	v_add_f16_e32 v141, v146, v147
	v_add_f16_e32 v146, v101, v103
	v_mul_f16_e32 v147, 0xba62, v153
	v_add_f16_e32 v134, v170, v134
	v_add_f16_e32 v149, v149, v150
	;; [unrolled: 1-line block ×4, first 2 shown]
	v_mul_f16_e32 v151, 0x3bb2, v153
	v_fmamk_f16 v152, v146, 0xb8d2, v147
	v_fma_f16 v147, v146, 0xb8d2, -v147
	v_add_f16_e32 v132, v140, v132
	v_mul_f16_e32 v140, 0xb5c8, v153
	v_add_f16_e32 v135, v196, v135
	v_add_f16_e32 v136, v171, v136
	;; [unrolled: 1-line block ×4, first 2 shown]
	v_fmamk_f16 v154, v146, 0xb461, v151
	v_add_f16_e32 v133, v152, v133
	v_add_f16_e32 v134, v147, v134
	v_fma_f16 v147, v146, 0xb461, -v151
	v_fmamk_f16 v151, v146, 0x3b76, v140
	v_mul_f16_e32 v152, 0xb836, v153
	v_fma_f16 v140, v146, 0x3b76, -v140
	v_add_f16_e32 v135, v203, v135
	v_add_f16_e32 v136, v147, v136
	;; [unrolled: 1-line block ×3, first 2 shown]
	v_mul_f16_e32 v147, 0x3bf7, v153
	v_fmamk_f16 v151, v146, 0xbacd, v152
	v_add_f16_e32 v140, v140, v142
	v_mul_f16_e32 v142, 0xb964, v153
	v_fma_f16 v152, v146, 0xbacd, -v152
	v_add_f16_e32 v135, v154, v135
	v_fmamk_f16 v154, v146, 0x2de8, v147
	v_add_f16_e32 v139, v151, v139
	v_fma_f16 v147, v146, 0x2de8, -v147
	v_fmamk_f16 v151, v146, 0x39e9, v142
	v_add_f16_e32 v144, v152, v144
	v_mul_f16_e32 v152, 0xb1e1, v153
	v_fma_f16 v142, v146, 0x39e9, -v142
	v_add_f16_e32 v138, v147, v138
	v_add_f16_e32 v143, v151, v143
	v_mul_f16_e32 v147, 0x3b29, v153
	v_fmamk_f16 v151, v146, 0xbbdd, v152
	v_sub_f16_e32 v153, v99, v102
	v_add_f16_e32 v145, v154, v145
	v_fma_f16 v152, v146, 0xbbdd, -v152
	v_fmamk_f16 v154, v146, 0x3722, v147
	v_fma_f16 v146, v146, 0x3722, -v147
	v_add_f16_e32 v141, v142, v141
	v_add_f16_e32 v142, v96, v97
	v_mul_f16_e32 v147, 0xb836, v153
	v_add_f16_e32 v149, v151, v149
	v_mul_f16_e32 v151, 0x3b29, v153
	v_add_f16_e32 v148, v152, v148
	v_add_f16_e32 v150, v154, v150
	v_fmamk_f16 v152, v142, 0xbacd, v147
	v_fma_f16 v147, v142, 0xbacd, -v147
	v_add_f16_e32 v132, v146, v132
	v_mul_f16_e32 v146, 0xbbf7, v153
	v_fmamk_f16 v154, v142, 0x3722, v151
	v_add_f16_e32 v133, v152, v133
	v_add_f16_e32 v134, v147, v134
	v_fma_f16 v147, v142, 0x3722, -v151
	v_fmamk_f16 v151, v142, 0x2de8, v146
	v_add_f16_e32 v152, v154, v135
	v_mul_f16_e32 v135, 0x3a62, v153
	v_fma_f16 v146, v142, 0x2de8, -v146
	v_add_f16_e32 v147, v147, v136
	v_add_f16_e32 v137, v151, v137
	v_mul_f16_e32 v136, 0xb5c8, v153
	v_fmamk_f16 v151, v142, 0xb8d2, v135
	v_add_f16_e32 v140, v146, v140
	v_mul_f16_e32 v146, 0xb1e1, v153
	v_fma_f16 v135, v142, 0xb8d2, -v135
	v_fmamk_f16 v154, v142, 0x3b76, v136
	v_add_f16_e32 v139, v151, v139
	v_fma_f16 v136, v142, 0x3b76, -v136
	v_fmamk_f16 v151, v142, 0xbbdd, v146
	v_add_f16_e32 v144, v135, v144
	v_add_f16_e32 v145, v154, v145
	v_mul_f16_e32 v135, 0x3964, v153
	v_add_f16_e32 v154, v136, v138
	v_add_f16_e32 v143, v151, v143
	v_fma_f16 v138, v142, 0xbbdd, -v146
	v_sub_f16_e32 v151, v93, v94
	v_mul_f16_e32 v136, 0xbbb2, v153
	v_fmamk_f16 v146, v142, 0x39e9, v135
	v_fma_f16 v135, v142, 0x39e9, -v135
	v_add_f16_e32 v155, v138, v141
	v_add_f16_e32 v156, v88, v89
	v_mul_f16_e32 v138, 0xb1e1, v151
	v_fmamk_f16 v153, v142, 0xb461, v136
	v_fma_f16 v136, v142, 0xb461, -v136
	v_add_f16_e32 v148, v135, v148
	v_mul_f16_e32 v141, 0x35c8, v151
	v_fmamk_f16 v135, v156, 0xbbdd, v138
	v_fma_f16 v138, v156, 0xbbdd, -v138
	v_mul_f16_e32 v142, 0xb836, v151
	v_add_f16_e32 v146, v146, v149
	v_add_f16_e32 v149, v153, v150
	;; [unrolled: 1-line block ×3, first 2 shown]
	v_fmamk_f16 v136, v156, 0x3b76, v141
	v_add_f16_e32 v135, v135, v133
	v_add_f16_e32 v132, v138, v134
	v_fma_f16 v133, v156, 0x3b76, -v141
	v_fmamk_f16 v134, v156, 0xbacd, v142
	v_mul_f16_e32 v141, 0x3964, v151
	v_add_f16_e32 v136, v136, v152
	v_fma_f16 v142, v156, 0xbacd, -v142
	v_add_f16_e32 v133, v133, v147
	v_add_f16_e32 v138, v134, v137
	v_mul_f16_e32 v137, 0xba62, v151
	v_fmamk_f16 v147, v156, 0x39e9, v141
	v_fma_f16 v141, v156, 0x39e9, -v141
	v_mul_f16_e32 v152, 0x3b29, v151
	v_add_f16_e32 v134, v142, v140
	v_fmamk_f16 v142, v156, 0xb8d2, v137
	v_add_f16_e32 v140, v147, v139
	v_fma_f16 v139, v156, 0xb8d2, -v137
	v_add_f16_e32 v137, v141, v144
	v_fmamk_f16 v144, v156, 0x3722, v152
	v_add_f16_e32 v141, v142, v145
	v_mul_f16_e32 v145, 0xbbb2, v151
	v_mul_f16_e32 v147, 0x3bf7, v151
	v_sub_f16_e32 v153, v95, v100
	v_add_f16_e32 v142, v144, v143
	v_fma_f16 v143, v156, 0x3722, -v152
	v_add_f16_e32 v139, v139, v154
	v_fmamk_f16 v144, v156, 0xb461, v145
	v_fmamk_f16 v152, v156, 0x2de8, v147
	v_fma_f16 v147, v156, 0x2de8, -v147
	v_add_f16_e32 v143, v143, v155
	v_add_f16_e32 v154, v86, v91
	v_mul_f16_e32 v155, 0xb5c8, v153
	v_sub_f16_e32 v161, v90, v98
	v_fma_f16 v151, v156, 0xb461, -v145
	v_add_f16_e32 v145, v144, v146
	v_add_f16_e32 v146, v152, v149
	;; [unrolled: 1-line block ×3, first 2 shown]
	v_fmamk_f16 v149, v154, 0x3b76, v155
	v_fma_f16 v150, v154, 0x3b76, -v155
	v_add_f16_e32 v164, v81, v85
	v_mul_f16_e32 v165, 0xb964, v161
	v_add_f16_e32 v144, v151, v148
	v_mul_f16_e32 v148, 0xb964, v153
	v_mul_f16_e32 v151, 0xbb29, v153
	;; [unrolled: 1-line block ×7, first 2 shown]
	v_add_f16_e32 v149, v115, v149
	v_fmamk_f16 v167, v164, 0x39e9, v165
	v_add_f16_e32 v150, v115, v150
	v_fma_f16 v165, v164, 0x39e9, -v165
	v_mul_f16_e32 v169, 0xbbf7, v161
	v_fmamk_f16 v152, v154, 0x39e9, v148
	v_fma_f16 v148, v154, 0x39e9, -v148
	v_fmamk_f16 v157, v154, 0x3722, v151
	v_fma_f16 v151, v154, 0x3722, -v151
	;; [unrolled: 2-line block ×7, first 2 shown]
	v_add_f16_e32 v149, v167, v149
	v_add_f16_e32 v150, v165, v150
	v_fmamk_f16 v154, v164, 0x2de8, v169
	v_mul_f16_e32 v165, 0xba62, v161
	v_fma_f16 v167, v164, 0x2de8, -v169
	v_mul_f16_e32 v169, 0xb1e1, v161
	v_add_f16_e32 v152, v115, v152
	v_add_f16_e32 v157, v115, v157
	v_fmamk_f16 v170, v164, 0xb8d2, v165
	v_add_f16_e32 v158, v115, v158
	v_fmamk_f16 v171, v164, 0xbbdd, v169
	v_add_f16_e32 v151, v115, v151
	v_fma_f16 v165, v164, 0xb8d2, -v165
	v_add_f16_e32 v152, v154, v152
	v_add_f16_e32 v154, v170, v157
	;; [unrolled: 1-line block ×3, first 2 shown]
	v_mul_f16_e32 v158, 0x3836, v161
	v_add_f16_e32 v148, v115, v148
	v_add_f16_e32 v151, v165, v151
	v_fma_f16 v165, v164, 0xbbdd, -v169
	v_add_f16_e32 v156, v115, v156
	v_fmamk_f16 v169, v164, 0xbacd, v158
	v_fma_f16 v158, v164, 0xbacd, -v158
	v_add_f16_e32 v148, v167, v148
	v_add_f16_e32 v155, v115, v155
	v_mul_f16_e32 v167, 0x3bb2, v161
	v_add_f16_e32 v160, v115, v160
	v_add_f16_e32 v156, v158, v156
	v_mul_f16_e32 v158, 0x3b29, v161
	v_add_f16_e32 v155, v165, v155
	v_fmamk_f16 v170, v164, 0xb461, v167
	v_fma_f16 v165, v164, 0xb461, -v167
	v_add_f16_e32 v166, v115, v166
	v_fmamk_f16 v167, v164, 0x3722, v158
	v_add_f16_e32 v159, v115, v159
	v_add_f16_e32 v162, v115, v162
	v_fma_f16 v158, v164, 0x3722, -v158
	v_add_f16_e32 v160, v165, v160
	v_mul_f16_e32 v161, 0x35c8, v161
	v_add_f16_e32 v165, v167, v166
	v_sub_f16_e32 v166, v84, v92
	v_add_f16_e32 v159, v169, v159
	v_add_f16_e32 v158, v158, v162
	;; [unrolled: 1-line block ×3, first 2 shown]
	v_fmamk_f16 v167, v164, 0x3b76, v161
	v_add_f16_e32 v168, v78, v80
	v_mul_f16_e32 v169, 0xbb29, v166
	v_fma_f16 v161, v164, 0x3b76, -v161
	v_add_f16_e32 v153, v115, v153
	v_add_f16_e32 v163, v115, v163
	;; [unrolled: 1-line block ×3, first 2 shown]
	v_mul_f16_e32 v164, 0xba62, v166
	v_fmamk_f16 v167, v168, 0x3722, v169
	v_fma_f16 v169, v168, 0x3722, -v169
	v_add_f16_e32 v153, v161, v153
	v_mul_f16_e32 v161, 0x31e1, v166
	v_add_f16_e32 v163, v170, v163
	v_fmamk_f16 v170, v168, 0xb8d2, v164
	v_add_f16_e32 v149, v167, v149
	v_add_f16_e32 v150, v169, v150
	v_fma_f16 v164, v168, 0xb8d2, -v164
	v_fmamk_f16 v167, v168, 0xbbdd, v161
	v_mul_f16_e32 v169, 0x3bb2, v166
	v_fma_f16 v161, v168, 0xbbdd, -v161
	v_add_f16_e32 v152, v170, v152
	v_add_f16_e32 v148, v164, v148
	;; [unrolled: 1-line block ×3, first 2 shown]
	v_mul_f16_e32 v164, 0x3964, v166
	v_fmamk_f16 v167, v168, 0xb461, v169
	v_add_f16_e32 v151, v161, v151
	v_mul_f16_e32 v161, 0xb5c8, v166
	v_fma_f16 v169, v168, 0xb461, -v169
	v_fmamk_f16 v170, v168, 0x39e9, v164
	v_add_f16_e32 v157, v167, v157
	v_fma_f16 v164, v168, 0x39e9, -v164
	v_fmamk_f16 v167, v168, 0x3b76, v161
	v_add_f16_e32 v155, v169, v155
	v_mul_f16_e32 v169, 0xbbf7, v166
	v_fma_f16 v161, v168, 0x3b76, -v161
	v_add_f16_e32 v156, v164, v156
	v_add_f16_e32 v163, v167, v163
	v_mul_f16_e32 v164, 0xb836, v166
	v_fmamk_f16 v166, v168, 0x2de8, v169
	v_fma_f16 v167, v168, 0x2de8, -v169
	v_sub_f16_e32 v169, v79, v87
	v_add_f16_e32 v159, v170, v159
	v_fmamk_f16 v170, v168, 0xbacd, v164
	v_fma_f16 v164, v168, 0xbacd, -v164
	v_add_f16_e32 v160, v161, v160
	v_add_f16_e32 v161, v74, v75
	v_mul_f16_e32 v168, 0xbbf7, v169
	v_add_f16_e32 v165, v166, v165
	v_mul_f16_e32 v166, 0xb1e1, v169
	v_add_f16_e32 v158, v167, v158
	v_add_f16_e32 v162, v170, v162
	v_fmamk_f16 v167, v161, 0x2de8, v168
	v_fma_f16 v168, v161, 0x2de8, -v168
	v_add_f16_e32 v153, v164, v153
	v_mul_f16_e32 v164, 0x3bb2, v169
	v_fmamk_f16 v170, v161, 0xbbdd, v166
	v_fma_f16 v166, v161, 0xbbdd, -v166
	v_add_f16_e32 v149, v167, v149
	v_add_f16_e32 v150, v168, v150
	v_fmamk_f16 v167, v161, 0xb461, v164
	v_mul_f16_e32 v168, 0x35c8, v169
	v_fma_f16 v164, v161, 0xb461, -v164
	v_add_f16_e32 v148, v166, v148
	v_mul_f16_e32 v166, 0xbb29, v169
	v_add_f16_e32 v152, v170, v152
	v_add_f16_e32 v154, v167, v154
	v_fmamk_f16 v167, v161, 0x3b76, v168
	v_add_f16_e32 v151, v164, v151
	v_mul_f16_e32 v164, 0xb836, v169
	v_fma_f16 v168, v161, 0x3b76, -v168
	v_fmamk_f16 v170, v161, 0x3722, v166
	v_fma_f16 v166, v161, 0x3722, -v166
	v_add_f16_e32 v157, v167, v157
	v_fmamk_f16 v167, v161, 0xbacd, v164
	v_add_f16_e32 v155, v168, v155
	v_mul_f16_e32 v168, 0x3a62, v169
	v_add_f16_e32 v156, v166, v156
	v_mul_f16_e32 v166, 0x3964, v169
	v_fma_f16 v164, v161, 0xbacd, -v164
	v_sub_f16_e32 v169, v76, v82
	v_add_f16_e32 v159, v170, v159
	v_add_f16_e32 v163, v167, v163
	v_fmamk_f16 v167, v161, 0xb8d2, v168
	v_fma_f16 v168, v161, 0xb8d2, -v168
	v_fmamk_f16 v170, v161, 0x39e9, v166
	v_fma_f16 v161, v161, 0x39e9, -v166
	v_add_f16_e32 v160, v164, v160
	v_add_f16_e32 v164, v70, v71
	v_mul_f16_e32 v166, 0xbbb2, v169
	v_add_f16_e32 v165, v167, v165
	v_add_f16_e32 v158, v168, v158
	v_mul_f16_e32 v167, 0x3836, v169
	v_add_f16_e32 v153, v161, v153
	v_fmamk_f16 v168, v164, 0xb461, v166
	v_fma_f16 v166, v164, 0xb461, -v166
	v_mul_f16_e32 v161, 0x3964, v169
	v_add_f16_e32 v162, v170, v162
	v_fmamk_f16 v170, v164, 0xbacd, v167
	v_add_f16_e32 v149, v168, v149
	v_add_f16_e32 v150, v166, v150
	v_fma_f16 v166, v164, 0xbacd, -v167
	v_fmamk_f16 v167, v164, 0x39e9, v161
	v_mul_f16_e32 v168, 0xbb29, v169
	v_fma_f16 v161, v164, 0x39e9, -v161
	v_add_f16_e32 v152, v170, v152
	v_add_f16_e32 v148, v166, v148
	v_mul_f16_e32 v166, 0xb1e1, v169
	v_add_f16_e32 v154, v167, v154
	v_fmamk_f16 v167, v164, 0x3722, v168
	v_add_f16_e32 v151, v161, v151
	v_mul_f16_e32 v161, 0x3bf7, v169
	v_fma_f16 v168, v164, 0x3722, -v168
	v_fmamk_f16 v170, v164, 0xbbdd, v166
	v_fma_f16 v166, v164, 0xbbdd, -v166
	v_add_f16_e32 v157, v167, v157
	v_fmamk_f16 v167, v164, 0x2de8, v161
	v_add_f16_e32 v155, v168, v155
	v_mul_f16_e32 v168, 0xb5c8, v169
	v_add_f16_e32 v156, v166, v156
	v_mul_f16_e32 v166, 0xba62, v169
	v_fma_f16 v161, v164, 0x2de8, -v161
	v_sub_f16_e32 v169, v72, v77
	v_add_f16_e32 v159, v170, v159
	v_add_f16_e32 v163, v167, v163
	v_fmamk_f16 v167, v164, 0x3b76, v168
	v_fma_f16 v168, v164, 0x3b76, -v168
	v_fmamk_f16 v170, v164, 0xb8d2, v166
	v_fma_f16 v164, v164, 0xb8d2, -v166
	v_add_f16_e32 v160, v161, v160
	v_add_f16_e32 v161, v65, v66
	v_mul_f16_e32 v166, 0xba62, v169
	v_add_f16_e32 v165, v167, v165
	v_add_f16_e32 v158, v168, v158
	v_mul_f16_e32 v167, 0x3bb2, v169
	v_add_f16_e32 v153, v164, v153
	v_fmamk_f16 v168, v161, 0xb8d2, v166
	v_fma_f16 v166, v161, 0xb8d2, -v166
	v_mul_f16_e32 v164, 0xb5c8, v169
	v_add_f16_e32 v162, v170, v162
	v_fmamk_f16 v170, v161, 0xb461, v167
	v_add_f16_e32 v149, v168, v149
	v_add_f16_e32 v150, v166, v150
	v_fma_f16 v166, v161, 0xb461, -v167
	v_fmamk_f16 v167, v161, 0x3b76, v164
	v_mul_f16_e32 v168, 0xb836, v169
	v_fma_f16 v164, v161, 0x3b76, -v164
	v_add_f16_e32 v152, v170, v152
	v_add_f16_e32 v148, v166, v148
	v_mul_f16_e32 v166, 0x3bf7, v169
	v_add_f16_e32 v154, v167, v154
	v_fmamk_f16 v167, v161, 0xbacd, v168
	v_add_f16_e32 v151, v164, v151
	v_mul_f16_e32 v164, 0xb964, v169
	v_fma_f16 v168, v161, 0xbacd, -v168
	v_fmamk_f16 v170, v161, 0x2de8, v166
	v_fma_f16 v166, v161, 0x2de8, -v166
	v_add_f16_e32 v157, v167, v157
	v_fmamk_f16 v167, v161, 0x39e9, v164
	v_add_f16_e32 v155, v168, v155
	v_mul_f16_e32 v168, 0xb1e1, v169
	v_add_f16_e32 v156, v166, v156
	v_mul_f16_e32 v166, 0x3b29, v169
	v_fma_f16 v164, v161, 0x39e9, -v164
	v_sub_f16_e32 v169, v69, v73
	v_add_f16_e32 v159, v170, v159
	v_add_f16_e32 v163, v167, v163
	v_fmamk_f16 v167, v161, 0xbbdd, v168
	v_fma_f16 v168, v161, 0xbbdd, -v168
	v_fmamk_f16 v170, v161, 0x3722, v166
	v_fma_f16 v161, v161, 0x3722, -v166
	v_add_f16_e32 v160, v164, v160
	v_add_f16_e32 v164, v62, v63
	v_mul_f16_e32 v166, 0xb836, v169
	v_add_f16_e32 v165, v167, v165
	v_add_f16_e32 v158, v168, v158
	v_mul_f16_e32 v167, 0x3b29, v169
	v_add_f16_e32 v114, v114, v125
	v_fmamk_f16 v168, v164, 0xbacd, v166
	v_fma_f16 v166, v164, 0xbacd, -v166
	v_add_f16_e32 v153, v161, v153
	v_mul_f16_e32 v161, 0xbbf7, v169
	v_add_f16_e32 v114, v114, v120
	v_add_f16_e32 v162, v170, v162
	;; [unrolled: 1-line block ×3, first 2 shown]
	v_fma_f16 v166, v164, 0x3722, -v167
	v_fmamk_f16 v170, v164, 0x3722, v167
	v_add_f16_e32 v149, v168, v149
	v_fmamk_f16 v167, v164, 0x2de8, v161
	v_mul_f16_e32 v168, 0x3a62, v169
	v_fma_f16 v161, v164, 0x2de8, -v161
	v_add_f16_e32 v148, v166, v148
	v_mul_f16_e32 v166, 0xb5c8, v169
	v_add_f16_e32 v114, v114, v113
	v_add_f16_e32 v115, v115, v86
	;; [unrolled: 1-line block ×4, first 2 shown]
	v_fmamk_f16 v167, v164, 0xb8d2, v168
	v_add_f16_e32 v151, v161, v151
	v_mul_f16_e32 v161, 0xb1e1, v169
	v_fma_f16 v168, v164, 0xb8d2, -v168
	v_fmamk_f16 v170, v164, 0x3b76, v166
	v_fma_f16 v166, v164, 0x3b76, -v166
	v_add_f16_e32 v114, v114, v109
	v_add_f16_e32 v115, v115, v81
	;; [unrolled: 1-line block ×3, first 2 shown]
	v_fmamk_f16 v167, v164, 0xbbdd, v161
	v_add_f16_e32 v155, v168, v155
	v_mul_f16_e32 v168, 0x3964, v169
	v_add_f16_e32 v156, v166, v156
	v_mul_f16_e32 v166, 0xbbb2, v169
	v_sub_f16_e32 v169, v64, v68
	v_add_f16_e32 v114, v114, v105
	v_add_f16_e32 v115, v115, v78
	;; [unrolled: 1-line block ×4, first 2 shown]
	v_fma_f16 v161, v164, 0xbbdd, -v161
	v_fmamk_f16 v167, v164, 0x39e9, v168
	v_fma_f16 v168, v164, 0x39e9, -v168
	v_fmamk_f16 v170, v164, 0xb461, v166
	v_fma_f16 v164, v164, 0xb461, -v166
	v_add_f16_e32 v166, v60, v61
	v_mul_f16_e32 v171, 0xb1e1, v169
	v_add_f16_e32 v114, v114, v101
	v_add_f16_e32 v115, v115, v74
	;; [unrolled: 1-line block ×4, first 2 shown]
	v_fmamk_f16 v165, v166, 0xbbdd, v171
	v_mul_f16_e32 v167, 0x35c8, v169
	v_add_f16_e32 v114, v114, v96
	v_add_f16_e32 v115, v115, v70
	;; [unrolled: 1-line block ×5, first 2 shown]
	v_fma_f16 v164, v166, 0xbbdd, -v171
	v_fmamk_f16 v165, v166, 0x3b76, v167
	v_mul_f16_e32 v168, 0xb836, v169
	v_add_f16_e32 v114, v114, v88
	v_add_f16_e32 v115, v115, v65
	v_add_f16_e32 v150, v164, v150
	v_add_f16_e32 v152, v165, v152
	v_fmamk_f16 v164, v166, 0xbacd, v168
	v_mul_f16_e32 v165, 0x3964, v169
	v_add_f16_e32 v114, v114, v89
	v_add_f16_e32 v115, v115, v62
	v_fma_f16 v167, v166, 0x3b76, -v167
	v_add_f16_e32 v154, v164, v154
	v_fmamk_f16 v164, v166, 0x39e9, v165
	v_add_f16_e32 v114, v114, v97
	v_add_f16_e32 v115, v115, v60
	;; [unrolled: 1-line block ×3, first 2 shown]
	v_fma_f16 v167, v166, 0xbacd, -v168
	v_fma_f16 v165, v166, 0x39e9, -v165
	v_add_f16_e32 v157, v164, v157
	v_mul_f16_e32 v164, 0xba62, v169
	v_add_f16_e32 v114, v114, v103
	v_add_f16_e32 v115, v115, v61
	;; [unrolled: 1-line block ×4, first 2 shown]
	v_mul_f16_e32 v165, 0x3b29, v169
	v_fmamk_f16 v167, v166, 0xb8d2, v164
	v_fma_f16 v164, v166, 0xb8d2, -v164
	v_add_f16_e32 v114, v114, v106
	v_add_f16_e32 v115, v115, v63
	v_fmamk_f16 v168, v166, 0x3722, v165
	v_fma_f16 v165, v166, 0x3722, -v165
	v_add_f16_e32 v156, v164, v156
	v_mul_f16_e32 v164, 0xbbb2, v169
	v_add_f16_e32 v114, v114, v110
	v_add_f16_e32 v115, v115, v66
	;; [unrolled: 1-line block ×4, first 2 shown]
	v_fmamk_f16 v168, v166, 0xb461, v164
	v_fma_f16 v164, v166, 0xb461, -v164
	v_and_b32_e32 v165, 0xffff, v128
	v_mov_b32_e32 v128, 1
	v_add_f16_e32 v114, v114, v116
	v_add_f16_e32 v115, v115, v71
	;; [unrolled: 1-line block ×3, first 2 shown]
	v_mad_u32_u24 v164, 0xee, v165, 0
	v_lshlrev_b32_sdwa v131, v128, v131 dst_sel:DWORD dst_unused:UNUSED_PAD src0_sel:DWORD src1_sel:BYTE_0
	v_add_f16_e32 v165, v114, v122
	v_add_f16_e32 v115, v115, v75
	;; [unrolled: 1-line block ×3, first 2 shown]
	v_mul_f16_e32 v167, 0x3bf7, v169
	v_add3_u32 v114, v164, v131, v0
	v_add_f16_e32 v131, v165, v127
	v_add_f16_e32 v115, v115, v80
	v_lshlrev_b32_sdwa v129, v128, v129 dst_sel:DWORD dst_unused:UNUSED_PAD src0_sel:DWORD src1_sel:BYTE_0
	v_add_f16_e32 v162, v170, v162
	v_fmamk_f16 v169, v166, 0x2de8, v167
	ds_write_b16 v114, v131
	v_add_f16_e32 v131, v115, v85
	v_fma_f16 v166, v166, 0x2de8, -v167
	v_add3_u32 v115, v130, v129, v0
	v_add_f16_e32 v161, v168, v161
	v_add_f16_e32 v162, v169, v162
	;; [unrolled: 1-line block ×4, first 2 shown]
	ds_write_b16 v114, v135 offset:14
	ds_write_b16 v114, v136 offset:28
	;; [unrolled: 1-line block ×16, first 2 shown]
	ds_write_b16 v115, v129
	ds_write_b16 v115, v149 offset:14
	ds_write_b16 v115, v152 offset:28
	;; [unrolled: 1-line block ×16, first 2 shown]
	s_and_saveexec_b32 s1, s0
	s_cbranch_execz .LBB0_18
; %bb.17:
	v_sub_f16_e32 v144, v59, v55
	v_add_f16_e32 v136, v50, v57
	v_sub_f16_e32 v143, v58, v56
	v_add_f16_e32 v135, v49, v54
	v_sub_f16_e32 v142, v51, v52
	v_mul_f16_e32 v146, 0xb1e1, v144
	v_add_f16_e32 v134, v43, v46
	v_mul_f16_e32 v147, 0x35c8, v143
	v_sub_f16_e32 v141, v47, v48
	v_mul_f16_e32 v148, 0xb836, v142
	v_fma_f16 v158, v136, 0xbbdd, -v146
	v_fmac_f16_e32 v146, 0xbbdd, v136
	v_fma_f16 v159, v135, 0x3b76, -v147
	v_add_f16_e32 v133, v18, v23
	v_sub_f16_e32 v140, v44, v45
	v_add_f16_e32 v158, v67, v158
	v_mul_f16_e32 v149, 0x3964, v141
	v_mul_f16_e32 v154, 0xb836, v144
	v_fma_f16 v160, v134, 0xbacd, -v148
	v_fmac_f16_e32 v147, 0x3b76, v135
	v_add_f16_e32 v158, v159, v158
	v_add_f16_e32 v146, v67, v146
	;; [unrolled: 1-line block ×4, first 2 shown]
	v_sub_f16_e32 v139, v19, v22
	v_mul_f16_e32 v150, 0xba62, v140
	v_mul_f16_e32 v155, 0x3b29, v143
	v_fma_f16 v161, v133, 0x39e9, -v149
	v_fmac_f16_e32 v148, 0xbacd, v134
	v_add_f16_e32 v158, v160, v158
	v_fma_f16 v159, v136, 0xbacd, -v154
	v_add_f16_e32 v146, v147, v146
	v_add_f16_e32 v129, v129, v49
	;; [unrolled: 1-line block ×3, first 2 shown]
	v_sub_f16_e32 v138, v15, v16
	v_mul_f16_e32 v151, 0x3b29, v139
	v_mul_f16_e32 v156, 0xbbf7, v142
	v_fma_f16 v162, v132, 0xb8d2, -v150
	v_fmac_f16_e32 v149, 0x39e9, v133
	v_add_f16_e32 v147, v161, v158
	v_fma_f16 v158, v135, 0x3722, -v155
	v_add_f16_e32 v159, v67, v159
	v_add_f16_e32 v146, v148, v146
	;; [unrolled: 1-line block ×4, first 2 shown]
	v_sub_f16_e32 v137, v9, v10
	v_mul_f16_e32 v152, 0xbbb2, v138
	v_mul_f16_e32 v157, 0x3a62, v141
	v_fma_f16 v163, v131, 0x3722, -v151
	v_fmac_f16_e32 v150, 0xb8d2, v132
	v_add_f16_e32 v147, v162, v147
	v_fma_f16 v148, v134, 0x2de8, -v156
	v_add_f16_e32 v158, v158, v159
	v_add_f16_e32 v146, v149, v146
	;; [unrolled: 1-line block ×4, first 2 shown]
	v_mul_f16_e32 v153, 0x3bf7, v137
	v_fma_f16 v164, v130, 0xb461, -v152
	v_fmac_f16_e32 v151, 0x3722, v131
	v_add_f16_e32 v147, v163, v147
	v_fma_f16 v149, v133, 0xb8d2, -v157
	v_add_f16_e32 v148, v148, v158
	v_add_f16_e32 v146, v150, v146
	v_mul_f16_e32 v150, 0xb5c8, v140
	v_add_f16_e32 v147, v164, v147
	v_fma_f16 v158, v129, 0x2de8, -v153
	v_fmac_f16_e32 v152, 0xb461, v130
	v_add_f16_e32 v151, v151, v146
	v_add_f16_e32 v148, v149, v148
	v_fma_f16 v149, v132, 0x3b76, -v150
	v_mul_f16_e32 v159, 0xb1e1, v139
	v_add_f16_e32 v146, v158, v147
	v_fmac_f16_e32 v154, 0xbacd, v136
	v_add_f16_e32 v147, v152, v151
	v_add_f16_e32 v148, v149, v148
	v_fma_f16 v149, v131, 0xbbdd, -v159
	v_mul_f16_e32 v151, 0x3964, v138
	v_add_f16_e32 v152, v67, v154
	v_fmac_f16_e32 v155, 0x3722, v135
	v_fmac_f16_e32 v153, 0x2de8, v129
	v_add_f16_e32 v148, v149, v148
	v_fma_f16 v149, v130, 0x39e9, -v151
	v_mul_f16_e32 v154, 0xba62, v144
	v_add_f16_e32 v152, v155, v152
	v_fmac_f16_e32 v156, 0x2de8, v134
	v_add_f16_e32 v147, v153, v147
	v_add_f16_e32 v148, v149, v148
	v_fma_f16 v149, v136, 0xb8d2, -v154
	v_mul_f16_e32 v153, 0x3bb2, v143
	v_add_f16_e32 v152, v156, v152
	v_fmac_f16_e32 v157, 0xb8d2, v133
	v_mul_f16_e32 v158, 0xb5c8, v142
	v_add_f16_e32 v149, v67, v149
	v_fma_f16 v156, v135, 0xb461, -v153
	v_mul_f16_e32 v155, 0xbbb2, v137
	v_add_f16_e32 v152, v157, v152
	v_fmac_f16_e32 v150, 0x3b76, v132
	v_mul_f16_e32 v160, 0xb836, v141
	v_add_f16_e32 v149, v156, v149
	v_fma_f16 v156, v134, 0x3b76, -v158
	v_fma_f16 v157, v129, 0xb461, -v155
	v_add_f16_e32 v150, v150, v152
	v_fmac_f16_e32 v159, 0xbbdd, v131
	v_fma_f16 v152, v133, 0xbacd, -v160
	v_add_f16_e32 v149, v156, v149
	v_mul_f16_e32 v156, 0x3bf7, v140
	v_add_f16_e32 v148, v157, v148
	v_add_f16_e32 v150, v159, v150
	v_fmac_f16_e32 v154, 0xb8d2, v136
	v_fmac_f16_e32 v151, 0x39e9, v130
	v_add_f16_e32 v149, v152, v149
	v_fma_f16 v152, v132, 0x2de8, -v156
	v_mul_f16_e32 v157, 0xb964, v139
	v_add_f16_e32 v154, v67, v154
	v_fmac_f16_e32 v153, 0xb461, v135
	v_add_f16_e32 v150, v151, v150
	v_add_f16_e32 v149, v152, v149
	v_fma_f16 v151, v131, 0x39e9, -v157
	v_mul_f16_e32 v152, 0xb1e1, v138
	v_add_f16_e32 v153, v153, v154
	v_fmac_f16_e32 v158, 0x3b76, v134
	v_fmac_f16_e32 v155, 0xb461, v129
	v_add_f16_e32 v149, v151, v149
	v_fma_f16 v151, v130, 0xbbdd, -v152
	v_mul_f16_e32 v154, 0xbbb2, v144
	v_add_f16_e32 v153, v158, v153
	v_fmac_f16_e32 v160, 0xbacd, v133
	v_add_f16_e32 v150, v155, v150
	v_add_f16_e32 v149, v151, v149
	v_fma_f16 v151, v136, 0xb461, -v154
	v_mul_f16_e32 v155, 0x3836, v143
	v_add_f16_e32 v153, v160, v153
	v_fmac_f16_e32 v156, 0x2de8, v132
	v_mul_f16_e32 v158, 0x3b29, v137
	v_add_f16_e32 v151, v67, v151
	v_fma_f16 v159, v135, 0xbacd, -v155
	v_mul_f16_e32 v160, 0x3964, v142
	v_add_f16_e32 v153, v156, v153
	v_fmac_f16_e32 v157, 0x39e9, v131
	v_fma_f16 v156, v129, 0x3722, -v158
	v_add_f16_e32 v151, v159, v151
	v_fma_f16 v159, v134, 0x39e9, -v160
	v_mul_f16_e32 v161, 0xbb29, v141
	v_add_f16_e32 v153, v157, v153
	v_fmac_f16_e32 v152, 0xbbdd, v130
	v_add_f16_e32 v149, v156, v149
	v_add_f16_e32 v151, v159, v151
	v_fma_f16 v156, v133, 0x3722, -v161
	v_mul_f16_e32 v157, 0xb1e1, v140
	v_add_f16_e32 v152, v152, v153
	v_fmac_f16_e32 v158, 0x3722, v129
	v_fmac_f16_e32 v154, 0xb461, v136
	v_add_f16_e32 v151, v156, v151
	v_fma_f16 v153, v132, 0xbbdd, -v157
	v_mul_f16_e32 v156, 0x3bf7, v139
	v_add_f16_e32 v152, v158, v152
	v_add_f16_e32 v154, v67, v154
	v_fmac_f16_e32 v155, 0xbacd, v135
	v_add_f16_e32 v151, v153, v151
	v_fma_f16 v153, v131, 0x2de8, -v156
	v_mul_f16_e32 v158, 0xbbf7, v144
	v_fmac_f16_e32 v160, 0x39e9, v134
	v_add_f16_e32 v154, v155, v154
	v_mul_f16_e32 v155, 0xb1e1, v143
	v_add_f16_e32 v151, v153, v151
	v_fma_f16 v153, v136, 0x2de8, -v158
	v_fmac_f16_e32 v161, 0x3722, v133
	v_add_f16_e32 v154, v160, v154
	v_fma_f16 v160, v135, 0xbbdd, -v155
	v_mul_f16_e32 v163, 0x3bb2, v142
	v_add_f16_e32 v153, v67, v153
	v_mul_f16_e32 v159, 0xb5c8, v138
	v_add_f16_e32 v154, v161, v154
	v_fmac_f16_e32 v157, 0xbbdd, v132
	v_mul_f16_e32 v161, 0x35c8, v141
	v_add_f16_e32 v153, v160, v153
	v_fma_f16 v160, v134, 0xb461, -v163
	v_fma_f16 v162, v130, 0x3b76, -v159
	v_add_f16_e32 v154, v157, v154
	v_fmac_f16_e32 v156, 0x2de8, v131
	v_fma_f16 v157, v133, 0x3b76, -v161
	v_add_f16_e32 v153, v160, v153
	v_mul_f16_e32 v160, 0xbb29, v140
	v_add_f16_e32 v151, v162, v151
	v_mul_f16_e32 v162, 0xba62, v137
	v_add_f16_e32 v154, v156, v154
	v_fmac_f16_e32 v159, 0x3b76, v130
	v_add_f16_e32 v153, v157, v153
	v_fma_f16 v156, v132, 0x3722, -v160
	v_mul_f16_e32 v157, 0xb836, v139
	v_fma_f16 v164, v129, 0xb8d2, -v162
	v_fmac_f16_e32 v158, 0x2de8, v136
	v_add_f16_e32 v154, v159, v154
	v_add_f16_e32 v153, v156, v153
	v_fma_f16 v156, v131, 0xbacd, -v157
	v_mul_f16_e32 v159, 0x3a62, v138
	v_add_f16_e32 v151, v164, v151
	v_add_f16_e32 v158, v67, v158
	v_fmac_f16_e32 v155, 0xbbdd, v135
	v_add_f16_e32 v153, v156, v153
	v_fma_f16 v156, v130, 0xb8d2, -v159
	v_mul_f16_e32 v164, 0xbb29, v144
	v_fmac_f16_e32 v162, 0xb8d2, v129
	v_add_f16_e32 v155, v155, v158
	v_fmac_f16_e32 v163, 0xb461, v134
	v_add_f16_e32 v153, v156, v153
	v_fma_f16 v156, v136, 0x3722, -v164
	v_mul_f16_e32 v158, 0xba62, v143
	v_add_f16_e32 v154, v162, v154
	v_add_f16_e32 v155, v163, v155
	v_fmac_f16_e32 v161, 0x3b76, v133
	v_mul_f16_e32 v162, 0x3964, v137
	v_add_f16_e32 v156, v67, v156
	v_fma_f16 v163, v135, 0xb8d2, -v158
	v_mul_f16_e32 v165, 0x31e1, v142
	v_add_f16_e32 v155, v161, v155
	v_fmac_f16_e32 v160, 0x3722, v132
	v_fma_f16 v161, v129, 0x39e9, -v162
	v_add_f16_e32 v156, v163, v156
	v_fma_f16 v163, v134, 0xbbdd, -v165
	v_mul_f16_e32 v166, 0x3bb2, v141
	v_add_f16_e32 v155, v160, v155
	v_fmac_f16_e32 v157, 0xbacd, v131
	v_add_f16_e32 v153, v161, v153
	v_add_f16_e32 v156, v163, v156
	v_fma_f16 v160, v133, 0xb461, -v166
	v_mul_f16_e32 v161, 0x3964, v140
	v_add_f16_e32 v155, v157, v155
	v_fmac_f16_e32 v164, 0x3722, v136
	v_fmac_f16_e32 v159, 0xb8d2, v130
	v_add_f16_e32 v156, v160, v156
	v_fma_f16 v157, v132, 0x39e9, -v161
	v_mul_f16_e32 v160, 0xb5c8, v139
	v_add_f16_e32 v163, v67, v164
	v_fmac_f16_e32 v158, 0xb8d2, v135
	v_add_f16_e32 v155, v159, v155
	v_add_f16_e32 v156, v157, v156
	v_fma_f16 v157, v131, 0x3b76, -v160
	v_mul_f16_e32 v159, 0xbbf7, v138
	v_add_f16_e32 v158, v158, v163
	v_fmac_f16_e32 v165, 0xbbdd, v134
	v_fmac_f16_e32 v162, 0x39e9, v129
	v_add_f16_e32 v156, v157, v156
	v_mul_f16_e32 v157, 0xb964, v144
	v_add_f16_e32 v145, v145, v14
	v_fma_f16 v163, v130, 0x2de8, -v159
	v_add_f16_e32 v158, v165, v158
	v_fmac_f16_e32 v166, 0xb461, v133
	v_add_f16_e32 v155, v162, v155
	v_fma_f16 v162, v136, 0x39e9, -v157
	v_mul_f16_e32 v164, 0xbbf7, v143
	v_fmac_f16_e32 v157, 0x39e9, v136
	v_add_f16_e32 v145, v145, v7
	v_add_f16_e32 v156, v163, v156
	;; [unrolled: 1-line block ×3, first 2 shown]
	v_fmac_f16_e32 v161, 0x39e9, v132
	v_add_f16_e32 v162, v67, v162
	v_fma_f16 v163, v135, 0x2de8, -v164
	v_mul_f16_e32 v165, 0xba62, v142
	v_add_f16_e32 v157, v67, v157
	v_fmac_f16_e32 v164, 0x2de8, v135
	v_add_f16_e32 v145, v145, v5
	v_add_f16_e32 v158, v161, v158
	v_fmac_f16_e32 v160, 0x3b76, v131
	v_add_f16_e32 v161, v163, v162
	v_fma_f16 v162, v134, 0xb8d2, -v165
	v_mul_f16_e32 v163, 0xb1e1, v141
	v_add_f16_e32 v157, v164, v157
	v_fmac_f16_e32 v165, 0xb8d2, v134
	v_mul_f16_e32 v144, 0xb5c8, v144
	v_add_f16_e32 v145, v145, v3
	v_add_f16_e32 v158, v160, v158
	v_add_f16_e32 v160, v162, v161
	v_fma_f16 v161, v133, 0xbbdd, -v163
	v_add_f16_e32 v157, v165, v157
	v_fmac_f16_e32 v163, 0xbbdd, v133
	v_mul_f16_e32 v143, 0xb964, v143
	v_fma_f16 v164, v136, 0x3b76, -v144
	v_fmac_f16_e32 v144, 0x3b76, v136
	v_add_f16_e32 v145, v145, v4
	v_add_f16_e32 v157, v163, v157
	v_fma_f16 v163, v135, 0x39e9, -v143
	v_mul_f16_e32 v142, 0xbb29, v142
	v_add_f16_e32 v144, v67, v144
	v_fmac_f16_e32 v143, 0x39e9, v135
	v_add_f16_e32 v145, v145, v6
	v_add_f16_e32 v67, v67, v164
	v_fmac_f16_e32 v159, 0x2de8, v130
	v_mul_f16_e32 v162, 0x3836, v140
	v_fma_f16 v135, v134, 0x3722, -v142
	v_mul_f16_e32 v141, 0xbbf7, v141
	v_add_f16_e32 v143, v143, v144
	v_fmac_f16_e32 v142, 0x3722, v134
	v_add_f16_e32 v145, v145, v11
	v_add_f16_e32 v67, v163, v67
	v_mul_f16_e32 v166, 0xb836, v137
	v_add_f16_e32 v158, v159, v158
	v_add_f16_e32 v159, v161, v160
	v_fma_f16 v160, v132, 0xbacd, -v162
	v_mul_f16_e32 v161, 0x3bb2, v139
	v_fmac_f16_e32 v162, 0xbacd, v132
	v_fma_f16 v144, v133, 0x2de8, -v141
	v_mul_f16_e32 v140, 0xbbb2, v140
	v_add_f16_e32 v142, v142, v143
	v_fmac_f16_e32 v141, 0x2de8, v133
	v_add_f16_e32 v145, v145, v17
	v_add_f16_e32 v67, v135, v67
	v_fma_f16 v167, v129, 0xbacd, -v166
	v_add_f16_e32 v159, v160, v159
	v_fma_f16 v160, v131, 0xb461, -v161
	v_add_f16_e32 v134, v162, v157
	v_fmac_f16_e32 v161, 0xb461, v131
	v_fma_f16 v133, v132, 0xb461, -v140
	v_mul_f16_e32 v135, 0xba62, v139
	v_add_f16_e32 v139, v141, v142
	v_fmac_f16_e32 v140, 0xb461, v132
	v_add_f16_e32 v145, v145, v23
	v_add_f16_e32 v67, v144, v67
	;; [unrolled: 1-line block ×3, first 2 shown]
	v_mul_f16_e32 v167, 0x3b29, v138
	v_add_f16_e32 v132, v161, v134
	v_fma_f16 v134, v131, 0xb8d2, -v135
	v_mul_f16_e32 v138, 0xb836, v138
	v_add_f16_e32 v139, v140, v139
	v_fmac_f16_e32 v135, 0xb8d2, v131
	v_add_f16_e32 v145, v145, v46
	v_add_f16_e32 v67, v133, v67
	v_fma_f16 v131, v130, 0xbacd, -v138
	v_mul_f16_e32 v133, 0xb1e1, v137
	v_add_f16_e32 v135, v135, v139
	v_fmac_f16_e32 v138, 0xbacd, v130
	v_add_f16_e32 v159, v160, v159
	v_fma_f16 v160, v130, 0x3722, -v167
	v_mul_f16_e32 v136, 0x35c8, v137
	v_fmac_f16_e32 v167, 0x3722, v130
	v_add_f16_e32 v145, v145, v54
	v_add_f16_e32 v67, v134, v67
	v_lshlrev_b32_sdwa v128, v128, v2 dst_sel:DWORD dst_unused:UNUSED_PAD src0_sel:DWORD src1_sel:BYTE_0
	v_fma_f16 v134, v129, 0xbbdd, -v133
	v_add_f16_e32 v135, v138, v135
	v_fmac_f16_e32 v133, 0xbbdd, v129
	v_fma_f16 v130, v129, 0x3b76, -v136
	v_add_f16_e32 v132, v167, v132
	v_fmac_f16_e32 v136, 0x3b76, v129
	v_fmac_f16_e32 v166, 0xbacd, v129
	v_add_f16_e32 v145, v145, v57
	v_add_f16_e32 v129, v160, v159
	;; [unrolled: 1-line block ×3, first 2 shown]
	v_add3_u32 v128, 0, v128, v0
	v_add_f16_e32 v131, v133, v135
	v_add_f16_e32 v132, v136, v132
	;; [unrolled: 1-line block ×5, first 2 shown]
	ds_write_b16 v128, v145 offset:952
	ds_write_b16 v128, v131 offset:966
	;; [unrolled: 1-line block ×17, first 2 shown]
.LBB0_18:
	s_or_b32 exec_lo, exec_lo, s1
	v_add_f16_e32 v67, v83, v126
	v_add_f16_e32 v126, v126, v124
	v_sub_f16_e32 v125, v125, v127
	v_add_f16_e32 v127, v121, v123
	v_sub_f16_e32 v122, v120, v122
	v_add_f16_e32 v67, v67, v121
	v_mul_f16_e32 v120, 0x3b76, v126
	v_mul_f16_e32 v128, 0x3722, v126
	;; [unrolled: 1-line block ×4, first 2 shown]
	v_add_f16_e32 v67, v67, v118
	v_mul_f16_e32 v130, 0xb461, v126
	v_mul_f16_e32 v131, 0xb8d2, v126
	;; [unrolled: 1-line block ×4, first 2 shown]
	v_add_f16_e32 v67, v67, v112
	v_mul_f16_e32 v133, 0x39e9, v127
	v_mul_f16_e32 v135, 0xb8d2, v127
	v_fmamk_f16 v138, v125, 0x35c8, v120
	v_fmac_f16_e32 v120, 0xb5c8, v125
	v_add_f16_e32 v67, v67, v108
	v_fmamk_f16 v140, v125, 0x3b29, v128
	v_fmac_f16_e32 v128, 0xbb29, v125
	v_mul_f16_e32 v136, 0xbbdd, v127
	v_fmamk_f16 v139, v125, 0x3964, v121
	v_add_f16_e32 v67, v67, v104
	v_fmac_f16_e32 v121, 0xb964, v125
	v_fmamk_f16 v141, v125, 0x3bf7, v129
	v_fmac_f16_e32 v129, 0xbbf7, v125
	v_fmamk_f16 v142, v125, 0x3bb2, v130
	v_add_f16_e32 v67, v67, v99
	v_fmac_f16_e32 v130, 0xbbb2, v125
	v_fmamk_f16 v143, v125, 0x3a62, v131
	v_fmac_f16_e32 v131, 0xba62, v125
	;; [unrolled: 5-line block ×4, first 2 shown]
	v_add_f16_e32 v120, v83, v120
	v_add_f16_e32 v67, v67, v102
	;; [unrolled: 1-line block ×4, first 2 shown]
	v_mul_f16_e32 v134, 0x2de8, v127
	v_mul_f16_e32 v137, 0xbacd, v127
	v_add_f16_e32 v67, v67, v107
	v_add_f16_e32 v131, v83, v131
	;; [unrolled: 1-line block ×3, first 2 shown]
	v_fmamk_f16 v146, v122, 0x3bf7, v134
	v_fmac_f16_e32 v134, 0xbbf7, v122
	v_add_f16_e32 v67, v67, v111
	v_add_f16_e32 v138, v83, v138
	;; [unrolled: 1-line block ×17, first 2 shown]
	v_sub_f16_e32 v113, v113, v116
	v_mul_f16_e32 v116, 0x3722, v118
	v_add_f16_e32 v125, v125, v138
	v_add_f16_e32 v120, v67, v124
	v_fmamk_f16 v67, v122, 0x31e1, v136
	v_add_f16_e32 v124, v135, v128
	v_fmac_f16_e32 v136, 0xb1e1, v122
	v_mul_f16_e32 v128, 0xb461, v127
	v_add_f16_e32 v121, v134, v121
	v_fmamk_f16 v134, v122, 0xb836, v137
	v_fmac_f16_e32 v137, 0x3836, v122
	v_add_f16_e32 v129, v136, v129
	v_fmamk_f16 v135, v122, 0xbbb2, v128
	v_fmac_f16_e32 v128, 0x3bb2, v122
	v_mul_f16_e32 v136, 0x3722, v127
	v_mul_f16_e32 v127, 0x3b76, v127
	v_add_f16_e32 v126, v146, v139
	v_add_f16_e32 v133, v147, v140
	;; [unrolled: 1-line block ×3, first 2 shown]
	v_fmamk_f16 v119, v122, 0xbb29, v136
	v_fmac_f16_e32 v136, 0x3b29, v122
	v_fmamk_f16 v131, v122, 0xb5c8, v127
	v_fmac_f16_e32 v127, 0x35c8, v122
	v_add_f16_e32 v130, v137, v130
	v_mul_f16_e32 v137, 0xb461, v118
	v_add_f16_e32 v122, v136, v132
	v_fmamk_f16 v132, v113, 0x3b29, v116
	v_mul_f16_e32 v136, 0xb8d2, v118
	v_add_f16_e32 v83, v127, v83
	v_fmac_f16_e32 v116, 0xbb29, v113
	v_mul_f16_e32 v127, 0xbbdd, v118
	v_add_f16_e32 v125, v132, v125
	v_fmamk_f16 v132, v113, 0x3a62, v136
	v_add_f16_e32 v67, v67, v141
	v_add_f16_e32 v116, v116, v123
	v_fmamk_f16 v123, v113, 0xb1e1, v127
	v_add_f16_e32 v134, v134, v142
	v_add_f16_e32 v126, v132, v126
	v_fmamk_f16 v132, v113, 0xbbb2, v137
	v_fmac_f16_e32 v137, 0x3bb2, v113
	v_add_f16_e32 v123, v123, v133
	v_mul_f16_e32 v133, 0x39e9, v118
	v_fmac_f16_e32 v127, 0x31e1, v113
	v_add_f16_e32 v67, v132, v67
	v_add_f16_e32 v129, v137, v129
	v_mul_f16_e32 v137, 0x2de8, v118
	v_fmamk_f16 v132, v113, 0xb964, v133
	v_add_f16_e32 v119, v119, v144
	v_add_f16_e32 v124, v127, v124
	v_mul_f16_e32 v127, 0x3b76, v118
	v_mul_f16_e32 v118, 0xbacd, v118
	v_add_f16_e32 v132, v132, v134
	v_fmamk_f16 v134, v113, 0x3bf7, v137
	v_add_f16_e32 v131, v131, v145
	v_fmac_f16_e32 v136, 0xba62, v113
	v_add_f16_e32 v112, v112, v117
	v_fmac_f16_e32 v133, 0x3964, v113
	v_add_f16_e32 v117, v134, v119
	v_fmamk_f16 v119, v113, 0x3836, v118
	v_add_f16_e32 v121, v136, v121
	v_fmamk_f16 v136, v113, 0x35c8, v127
	v_fmac_f16_e32 v127, 0xb5c8, v113
	v_fmac_f16_e32 v137, 0xbbf7, v113
	v_sub_f16_e32 v109, v109, v110
	v_mul_f16_e32 v110, 0x2de8, v112
	v_fmac_f16_e32 v118, 0xb836, v113
	v_add_f16_e32 v113, v119, v131
	v_mul_f16_e32 v119, 0xbbdd, v112
	v_add_f16_e32 v127, v127, v128
	v_fmamk_f16 v128, v109, 0x3bf7, v110
	v_fmac_f16_e32 v110, 0xbbf7, v109
	v_add_f16_e32 v83, v118, v83
	v_mul_f16_e32 v118, 0xb461, v112
	v_fmamk_f16 v131, v109, 0x31e1, v119
	v_fmac_f16_e32 v119, 0xb1e1, v109
	v_add_f16_e32 v125, v128, v125
	v_add_f16_e32 v110, v110, v116
	v_fmamk_f16 v116, v109, 0xbbb2, v118
	v_mul_f16_e32 v128, 0x3b76, v112
	v_fmac_f16_e32 v118, 0x3bb2, v109
	v_add_f16_e32 v119, v119, v121
	v_mul_f16_e32 v121, 0x3722, v112
	v_add_f16_e32 v130, v133, v130
	v_add_f16_e32 v126, v131, v126
	;; [unrolled: 1-line block ×3, first 2 shown]
	v_fmamk_f16 v123, v109, 0xb5c8, v128
	v_add_f16_e32 v118, v118, v124
	v_fmac_f16_e32 v128, 0x35c8, v109
	v_mul_f16_e32 v124, 0xbacd, v112
	v_fmamk_f16 v131, v109, 0x3b29, v121
	v_fmac_f16_e32 v121, 0xbb29, v109
	v_add_f16_e32 v67, v123, v67
	v_add_f16_e32 v123, v128, v129
	v_fmamk_f16 v128, v109, 0x3836, v124
	v_fmac_f16_e32 v124, 0xb836, v109
	v_add_f16_e32 v121, v121, v130
	v_mul_f16_e32 v130, 0xb8d2, v112
	v_mul_f16_e32 v112, 0x39e9, v112
	v_add_f16_e32 v108, v108, v111
	v_add_f16_e32 v122, v137, v122
	;; [unrolled: 1-line block ×3, first 2 shown]
	v_fmamk_f16 v111, v109, 0xba62, v130
	v_fmac_f16_e32 v130, 0x3a62, v109
	v_fmamk_f16 v127, v109, 0xb964, v112
	v_sub_f16_e32 v105, v105, v106
	v_mul_f16_e32 v106, 0xb461, v108
	v_fmac_f16_e32 v112, 0x3964, v109
	v_add_f16_e32 v111, v111, v117
	v_add_f16_e32 v117, v130, v122
	;; [unrolled: 1-line block ×3, first 2 shown]
	v_fmamk_f16 v113, v105, 0x3bb2, v106
	v_mul_f16_e32 v122, 0xbacd, v108
	v_fmac_f16_e32 v106, 0xbbb2, v105
	v_add_f16_e32 v83, v112, v83
	v_mul_f16_e32 v112, 0x39e9, v108
	v_add_f16_e32 v113, v113, v125
	v_fmamk_f16 v125, v105, 0xb836, v122
	v_add_f16_e32 v106, v106, v110
	v_fmac_f16_e32 v122, 0x3836, v105
	v_fmamk_f16 v110, v105, 0xb964, v112
	v_mul_f16_e32 v127, 0x3722, v108
	v_fmac_f16_e32 v112, 0x3964, v105
	v_add_f16_e32 v104, v104, v107
	v_add_f16_e32 v119, v122, v119
	;; [unrolled: 1-line block ×3, first 2 shown]
	v_fmamk_f16 v116, v105, 0x3b29, v127
	v_mul_f16_e32 v122, 0xbbdd, v108
	v_add_f16_e32 v112, v112, v118
	v_mul_f16_e32 v118, 0x2de8, v108
	v_add_f16_e32 v125, v125, v126
	v_add_f16_e32 v67, v116, v67
	v_fmamk_f16 v116, v105, 0x31e1, v122
	v_fmac_f16_e32 v122, 0xb1e1, v105
	v_fmamk_f16 v126, v105, 0xbbf7, v118
	v_fmac_f16_e32 v118, 0x3bf7, v105
	v_mul_f16_e32 v107, 0xb8d2, v108
	v_sub_f16_e32 v101, v101, v103
	v_add_f16_e32 v121, v122, v121
	v_mul_f16_e32 v122, 0x3b76, v108
	v_mul_f16_e32 v103, 0xb8d2, v104
	v_add_f16_e32 v118, v118, v124
	v_fmamk_f16 v124, v105, 0x3a62, v107
	v_fmac_f16_e32 v107, 0xba62, v105
	v_fmamk_f16 v108, v105, 0x35c8, v122
	v_fmac_f16_e32 v122, 0xb5c8, v105
	v_fmac_f16_e32 v127, 0xbb29, v105
	v_add_f16_e32 v129, v131, v132
	v_add_f16_e32 v83, v107, v83
	;; [unrolled: 1-line block ×3, first 2 shown]
	v_fmamk_f16 v111, v101, 0x3a62, v103
	v_add_f16_e32 v105, v122, v117
	v_mul_f16_e32 v117, 0xb461, v104
	v_fmac_f16_e32 v103, 0xba62, v101
	v_add_f16_e32 v123, v127, v123
	v_add_f16_e32 v107, v111, v113
	v_mul_f16_e32 v111, 0x3b76, v104
	v_fmamk_f16 v113, v101, 0xbbb2, v117
	v_fmac_f16_e32 v117, 0x3bb2, v101
	v_add_f16_e32 v103, v103, v106
	v_mul_f16_e32 v106, 0xbacd, v104
	v_fmamk_f16 v122, v101, 0x35c8, v111
	v_add_f16_e32 v116, v116, v129
	v_add_f16_e32 v117, v117, v119
	v_fmac_f16_e32 v111, 0xb5c8, v101
	v_fmamk_f16 v119, v101, 0x3836, v106
	v_add_f16_e32 v110, v122, v110
	v_fmac_f16_e32 v106, 0xb836, v101
	v_mul_f16_e32 v122, 0x2de8, v104
	v_add_f16_e32 v111, v111, v112
	v_add_f16_e32 v67, v119, v67
	v_mul_f16_e32 v112, 0x39e9, v104
	v_add_f16_e32 v106, v106, v123
	v_fmamk_f16 v119, v101, 0xbbf7, v122
	v_fmac_f16_e32 v122, 0x3bf7, v101
	v_mul_f16_e32 v123, 0xbbdd, v104
	v_add_f16_e32 v99, v99, v102
	v_mul_f16_e32 v102, 0x3722, v104
	v_add_f16_e32 v116, v119, v116
	v_add_f16_e32 v119, v122, v121
	v_fmamk_f16 v121, v101, 0x31e1, v123
	v_fmac_f16_e32 v123, 0xb1e1, v101
	v_add_f16_e32 v135, v135, v143
	v_add_f16_e32 v109, v124, v109
	v_fmamk_f16 v124, v101, 0x3964, v112
	v_fmac_f16_e32 v112, 0xb964, v101
	v_add_f16_e32 v104, v121, v108
	v_sub_f16_e32 v96, v96, v97
	v_mul_f16_e32 v97, 0xbacd, v99
	v_fmamk_f16 v108, v101, 0xbb29, v102
	v_fmac_f16_e32 v102, 0x3b29, v101
	v_add_f16_e32 v101, v123, v105
	v_mul_f16_e32 v105, 0x3722, v99
	v_add_f16_e32 v133, v136, v135
	v_add_f16_e32 v113, v113, v125
	;; [unrolled: 1-line block ×3, first 2 shown]
	v_fmamk_f16 v118, v96, 0x3836, v97
	v_add_f16_e32 v108, v108, v109
	v_add_f16_e32 v83, v102, v83
	v_fmac_f16_e32 v97, 0xb836, v96
	v_fmamk_f16 v102, v96, 0xbb29, v105
	v_mul_f16_e32 v109, 0x2de8, v99
	v_fmac_f16_e32 v105, 0x3b29, v96
	v_add_f16_e32 v128, v128, v133
	v_add_f16_e32 v97, v97, v103
	;; [unrolled: 1-line block ×3, first 2 shown]
	v_mul_f16_e32 v103, 0xb8d2, v99
	v_fmamk_f16 v113, v96, 0x3bf7, v109
	v_add_f16_e32 v105, v105, v117
	v_mul_f16_e32 v117, 0x3b76, v99
	v_fmac_f16_e32 v109, 0xbbf7, v96
	v_add_f16_e32 v126, v126, v128
	v_add_f16_e32 v107, v118, v107
	v_fmamk_f16 v118, v96, 0xba62, v103
	v_add_f16_e32 v110, v113, v110
	v_fmac_f16_e32 v103, 0x3a62, v96
	v_fmamk_f16 v113, v96, 0x35c8, v117
	v_add_f16_e32 v109, v109, v111
	v_mul_f16_e32 v111, 0xbbdd, v99
	v_add_f16_e32 v122, v124, v126
	v_add_f16_e32 v67, v118, v67
	;; [unrolled: 1-line block ×4, first 2 shown]
	v_fmac_f16_e32 v117, 0xb5c8, v96
	v_fmamk_f16 v106, v96, 0x31e1, v111
	v_add_f16_e32 v116, v53, v95
	v_mul_f16_e32 v103, 0x39e9, v99
	v_add_f16_e32 v93, v93, v94
	v_add_f16_e32 v117, v117, v119
	;; [unrolled: 1-line block ×4, first 2 shown]
	v_mul_f16_e32 v94, 0xb461, v99
	v_fmac_f16_e32 v111, 0xb1e1, v96
	v_fmamk_f16 v121, v96, 0xb964, v103
	v_fmac_f16_e32 v103, 0x3964, v96
	v_add_f16_e32 v99, v106, v84
	v_sub_f16_e32 v88, v88, v89
	v_add_f16_e32 v111, v111, v112
	v_add_f16_e32 v112, v121, v104
	v_mul_f16_e32 v89, 0xbbdd, v93
	v_add_f16_e32 v99, v99, v79
	v_fmamk_f16 v104, v96, 0x3bb2, v94
	v_fmac_f16_e32 v94, 0xbbb2, v96
	v_add_f16_e32 v96, v103, v101
	v_fmamk_f16 v101, v88, 0x31e1, v89
	v_add_f16_e32 v99, v99, v76
	v_fmac_f16_e32 v89, 0xb1e1, v88
	v_add_f16_e32 v83, v94, v83
	v_mul_f16_e32 v94, 0x3b76, v93
	v_mul_f16_e32 v106, 0xbacd, v93
	v_add_f16_e32 v99, v99, v72
	v_add_f16_e32 v97, v89, v97
	;; [unrolled: 1-line block ×3, first 2 shown]
	v_fmamk_f16 v103, v88, 0xb5c8, v94
	v_fmac_f16_e32 v94, 0x35c8, v88
	v_add_f16_e32 v89, v99, v69
	v_fmamk_f16 v104, v88, 0x3836, v106
	v_fmac_f16_e32 v106, 0xb836, v88
	v_add_f16_e32 v103, v103, v102
	v_add_f16_e32 v99, v94, v105
	v_mul_f16_e32 v94, 0x39e9, v93
	v_add_f16_e32 v89, v89, v64
	v_add_f16_e32 v102, v106, v109
	;; [unrolled: 1-line block ×3, first 2 shown]
	v_mul_f16_e32 v107, 0xb8d2, v93
	v_fmamk_f16 v105, v88, 0xb964, v94
	v_add_f16_e32 v89, v89, v68
	v_fmac_f16_e32 v94, 0x3964, v88
	v_add_f16_e32 v104, v104, v110
	v_fmamk_f16 v108, v88, 0x3a62, v107
	v_add_f16_e32 v106, v105, v67
	v_add_f16_e32 v67, v89, v73
	v_mul_f16_e32 v89, 0x3722, v93
	v_add_f16_e32 v105, v94, v118
	v_mul_f16_e32 v94, 0xb461, v93
	v_add_f16_e32 v108, v108, v113
	v_add_f16_e32 v67, v67, v77
	v_fmamk_f16 v109, v88, 0xbb29, v89
	v_fmac_f16_e32 v89, 0x3b29, v88
	v_fmac_f16_e32 v107, 0xba62, v88
	v_fmamk_f16 v113, v88, 0x3bb2, v94
	v_add_f16_e32 v67, v67, v82
	v_add_f16_e32 v110, v109, v119
	;; [unrolled: 1-line block ×3, first 2 shown]
	v_mul_f16_e32 v89, 0x2de8, v93
	v_add_f16_e32 v93, v95, v100
	v_add_f16_e32 v67, v67, v87
	v_sub_f16_e32 v86, v86, v91
	v_add_f16_e32 v107, v107, v117
	v_fmamk_f16 v95, v88, 0xbbf7, v89
	v_fmac_f16_e32 v89, 0x3bf7, v88
	v_add_f16_e32 v67, v67, v92
	v_mul_f16_e32 v122, 0xbacd, v93
	v_add_f16_e32 v111, v113, v112
	v_fmac_f16_e32 v94, 0xbbb2, v88
	v_mul_f16_e32 v88, 0x3b76, v93
	v_add_f16_e32 v67, v67, v98
	v_add_f16_e32 v113, v95, v116
	;; [unrolled: 1-line block ×3, first 2 shown]
	v_mul_f16_e32 v89, 0x39e9, v93
	v_mul_f16_e32 v95, 0x2de8, v93
	v_add_f16_e32 v100, v67, v100
	v_mul_f16_e32 v67, 0x3722, v93
	v_mul_f16_e32 v117, 0xb461, v93
	;; [unrolled: 1-line block ×3, first 2 shown]
	v_fmamk_f16 v123, v86, 0x3836, v122
	v_mul_f16_e32 v93, 0xbbdd, v93
	v_add_f16_e32 v90, v90, v98
	v_add_f16_e32 v112, v94, v96
	v_fmamk_f16 v83, v86, 0x35c8, v88
	v_fmac_f16_e32 v88, 0xb5c8, v86
	v_fmamk_f16 v91, v86, 0x3964, v89
	v_fmac_f16_e32 v89, 0xb964, v86
	;; [unrolled: 2-line block ×6, first 2 shown]
	v_fmac_f16_e32 v122, 0xb836, v86
	v_add_f16_e32 v98, v53, v123
	v_fmamk_f16 v123, v86, 0x31e1, v93
	v_sub_f16_e32 v81, v81, v85
	v_mul_f16_e32 v85, 0x39e9, v90
	v_fmac_f16_e32 v93, 0xb1e1, v86
	v_add_f16_e32 v83, v53, v83
	v_add_f16_e32 v88, v53, v88
	;; [unrolled: 1-line block ×14, first 2 shown]
	v_fmamk_f16 v124, v81, 0x3964, v85
	v_fmac_f16_e32 v85, 0xb964, v81
	v_add_f16_e32 v53, v53, v93
	v_mul_f16_e32 v93, 0xb8d2, v90
	v_mul_f16_e32 v123, 0x2de8, v90
	v_add_f16_e32 v83, v124, v83
	v_add_f16_e32 v85, v85, v88
	v_mul_f16_e32 v124, 0xbbdd, v90
	v_fmamk_f16 v88, v81, 0x3a62, v93
	v_fmamk_f16 v125, v81, 0x3bf7, v123
	v_fmac_f16_e32 v123, 0xbbf7, v81
	v_fmac_f16_e32 v93, 0xba62, v81
	v_add_f16_e32 v84, v84, v92
	v_add_f16_e32 v88, v88, v94
	v_mul_f16_e32 v94, 0xbacd, v90
	v_add_f16_e32 v91, v125, v91
	v_add_f16_e32 v89, v123, v89
	v_fmamk_f16 v123, v81, 0x31e1, v124
	v_add_f16_e32 v67, v93, v67
	v_mul_f16_e32 v93, 0xb461, v90
	v_fmamk_f16 v125, v81, 0xb836, v94
	v_fmac_f16_e32 v94, 0x3836, v81
	v_add_f16_e32 v96, v123, v96
	v_sub_f16_e32 v78, v78, v80
	v_fmamk_f16 v123, v81, 0xbbb2, v93
	v_fmac_f16_e32 v93, 0x3bb2, v81
	v_add_f16_e32 v94, v94, v117
	v_mul_f16_e32 v117, 0x3722, v90
	v_mul_f16_e32 v90, 0x3b76, v90
	;; [unrolled: 1-line block ×3, first 2 shown]
	v_add_f16_e32 v93, v93, v118
	v_fmac_f16_e32 v124, 0xb1e1, v81
	v_fmamk_f16 v92, v81, 0xbb29, v117
	v_fmac_f16_e32 v117, 0x3b29, v81
	v_fmamk_f16 v118, v81, 0xb5c8, v90
	v_fmac_f16_e32 v90, 0x35c8, v81
	v_add_f16_e32 v95, v124, v95
	v_add_f16_e32 v92, v92, v98
	v_add_f16_e32 v81, v117, v122
	v_fmamk_f16 v98, v78, 0x3b29, v80
	v_mul_f16_e32 v117, 0xb8d2, v84
	v_add_f16_e32 v53, v90, v53
	v_fmac_f16_e32 v80, 0xbb29, v78
	v_mul_f16_e32 v90, 0xbbdd, v84
	v_add_f16_e32 v86, v118, v86
	v_add_f16_e32 v83, v98, v83
	v_fmamk_f16 v98, v78, 0x3a62, v117
	v_add_f16_e32 v80, v80, v85
	v_fmamk_f16 v85, v78, 0xb1e1, v90
	v_mul_f16_e32 v118, 0xb461, v84
	v_fmac_f16_e32 v90, 0x31e1, v78
	v_fmac_f16_e32 v117, 0xba62, v78
	v_add_f16_e32 v91, v98, v91
	v_add_f16_e32 v85, v85, v88
	v_fmamk_f16 v88, v78, 0xbbb2, v118
	v_mul_f16_e32 v98, 0x39e9, v84
	v_fmac_f16_e32 v118, 0x3bb2, v78
	v_add_f16_e32 v67, v90, v67
	v_mul_f16_e32 v90, 0x3b76, v84
	v_add_f16_e32 v121, v123, v121
	v_add_f16_e32 v89, v117, v89
	;; [unrolled: 1-line block ×3, first 2 shown]
	v_fmamk_f16 v96, v78, 0xb964, v98
	v_add_f16_e32 v95, v118, v95
	v_fmac_f16_e32 v98, 0x3964, v78
	v_fmamk_f16 v117, v78, 0x35c8, v90
	v_mul_f16_e32 v118, 0x2de8, v84
	v_mul_f16_e32 v84, 0xbacd, v84
	v_add_f16_e32 v79, v79, v87
	v_add_f16_e32 v94, v98, v94
	;; [unrolled: 1-line block ×3, first 2 shown]
	v_fmamk_f16 v117, v78, 0x3bf7, v118
	v_sub_f16_e32 v74, v74, v75
	v_mul_f16_e32 v75, 0x2de8, v79
	v_fmac_f16_e32 v90, 0xb5c8, v78
	v_fmac_f16_e32 v118, 0xbbf7, v78
	v_add_f16_e32 v87, v117, v92
	v_fmamk_f16 v92, v78, 0x3836, v84
	v_fmac_f16_e32 v84, 0xb836, v78
	v_add_f16_e32 v90, v90, v93
	v_add_f16_e32 v76, v76, v82
	;; [unrolled: 1-line block ×4, first 2 shown]
	v_fmamk_f16 v92, v74, 0x3bf7, v75
	v_fmac_f16_e32 v75, 0xbbf7, v74
	v_add_f16_e32 v53, v84, v53
	v_mul_f16_e32 v84, 0xb461, v79
	v_mul_f16_e32 v86, 0xbbdd, v79
	v_add_f16_e32 v83, v92, v83
	v_add_f16_e32 v75, v75, v80
	v_mul_f16_e32 v92, 0x3b76, v79
	v_fmamk_f16 v80, v74, 0xbbb2, v84
	v_fmamk_f16 v93, v74, 0x31e1, v86
	v_fmac_f16_e32 v86, 0xb1e1, v74
	v_fmac_f16_e32 v84, 0x3bb2, v74
	v_sub_f16_e32 v70, v70, v71
	v_add_f16_e32 v80, v80, v85
	v_mul_f16_e32 v85, 0x3722, v79
	v_add_f16_e32 v91, v93, v91
	v_add_f16_e32 v86, v86, v89
	v_fmamk_f16 v89, v74, 0xb5c8, v92
	v_add_f16_e32 v67, v84, v67
	v_fmac_f16_e32 v92, 0x35c8, v74
	v_mul_f16_e32 v84, 0xbacd, v79
	v_fmamk_f16 v93, v74, 0x3b29, v85
	v_fmac_f16_e32 v85, 0xbb29, v74
	v_add_f16_e32 v88, v89, v88
	v_add_f16_e32 v89, v92, v95
	v_fmamk_f16 v92, v74, 0x3836, v84
	v_fmac_f16_e32 v84, 0xb836, v74
	v_add_f16_e32 v85, v85, v94
	v_mul_f16_e32 v94, 0xb8d2, v79
	v_mul_f16_e32 v79, 0x39e9, v79
	;; [unrolled: 1-line block ×3, first 2 shown]
	v_add_f16_e32 v84, v84, v90
	v_add_f16_e32 v92, v92, v98
	v_fmamk_f16 v82, v74, 0xba62, v94
	v_fmac_f16_e32 v94, 0x3a62, v74
	v_fmamk_f16 v90, v74, 0xb964, v79
	v_fmac_f16_e32 v79, 0x3964, v74
	v_add_f16_e32 v72, v72, v77
	v_add_f16_e32 v82, v82, v87
	v_add_f16_e32 v74, v94, v81
	v_fmamk_f16 v81, v70, 0x3bb2, v71
	v_mul_f16_e32 v87, 0xbacd, v76
	v_add_f16_e32 v53, v79, v53
	v_fmac_f16_e32 v71, 0xbbb2, v70
	v_mul_f16_e32 v79, 0x39e9, v76
	v_add_f16_e32 v78, v90, v78
	v_add_f16_e32 v81, v81, v83
	v_fmamk_f16 v83, v70, 0xb836, v87
	v_fmac_f16_e32 v87, 0x3836, v70
	v_add_f16_e32 v71, v71, v75
	v_fmamk_f16 v75, v70, 0xb964, v79
	v_mul_f16_e32 v90, 0x3722, v76
	v_fmac_f16_e32 v79, 0x3964, v70
	v_add_f16_e32 v86, v87, v86
	v_mul_f16_e32 v87, 0xbbdd, v76
	v_add_f16_e32 v75, v75, v80
	v_fmamk_f16 v80, v70, 0x3b29, v90
	v_fmac_f16_e32 v90, 0xbb29, v70
	v_add_f16_e32 v67, v79, v67
	v_mul_f16_e32 v79, 0x2de8, v76
	v_add_f16_e32 v83, v83, v91
	v_add_f16_e32 v80, v80, v88
	v_fmamk_f16 v88, v70, 0x31e1, v87
	v_add_f16_e32 v89, v90, v89
	v_fmac_f16_e32 v87, 0xb1e1, v70
	v_fmamk_f16 v90, v70, 0xbbf7, v79
	v_mul_f16_e32 v91, 0x3b76, v76
	v_mul_f16_e32 v76, 0xb8d2, v76
	v_sub_f16_e32 v65, v65, v66
	v_add_f16_e32 v85, v87, v85
	v_add_f16_e32 v87, v90, v92
	v_fmamk_f16 v90, v70, 0x35c8, v91
	v_mul_f16_e32 v66, 0xb8d2, v72
	v_fmac_f16_e32 v79, 0x3bf7, v70
	v_fmac_f16_e32 v91, 0xb5c8, v70
	v_add_f16_e32 v69, v69, v73
	v_add_f16_e32 v77, v90, v82
	v_fmamk_f16 v82, v70, 0x3a62, v76
	v_fmac_f16_e32 v76, 0xba62, v70
	v_add_f16_e32 v79, v79, v84
	v_add_f16_e32 v74, v91, v74
	v_sub_f16_e32 v62, v62, v63
	v_add_f16_e32 v70, v82, v78
	v_mul_f16_e32 v78, 0xb461, v72
	v_fmamk_f16 v82, v65, 0x3a62, v66
	v_fmac_f16_e32 v66, 0xba62, v65
	v_add_f16_e32 v53, v76, v53
	v_mul_f16_e32 v76, 0x3b76, v72
	v_fmamk_f16 v84, v65, 0xbbb2, v78
	v_add_f16_e32 v81, v82, v81
	v_add_f16_e32 v66, v66, v71
	v_fmac_f16_e32 v78, 0x3bb2, v65
	v_fmamk_f16 v71, v65, 0x35c8, v76
	v_add_f16_e32 v82, v84, v83
	v_mul_f16_e32 v83, 0xbacd, v72
	v_fmac_f16_e32 v76, 0xb5c8, v65
	v_add_f16_e32 v78, v78, v86
	v_add_f16_e32 v71, v71, v75
	v_mul_f16_e32 v75, 0x2de8, v72
	v_fmamk_f16 v84, v65, 0x3836, v83
	v_add_f16_e32 v67, v76, v67
	v_mul_f16_e32 v76, 0x39e9, v72
	v_mul_f16_e32 v63, 0xbacd, v69
	v_fmamk_f16 v86, v65, 0xbbf7, v75
	v_fmac_f16_e32 v75, 0x3bf7, v65
	v_add_f16_e32 v80, v84, v80
	v_fmamk_f16 v84, v65, 0x3964, v76
	v_fmac_f16_e32 v76, 0xb964, v65
	v_fmac_f16_e32 v83, 0xb836, v65
	v_add_f16_e32 v75, v75, v85
	v_mul_f16_e32 v85, 0xbbdd, v72
	v_mul_f16_e32 v72, 0x3722, v72
	v_add_f16_e32 v76, v76, v79
	v_add_f16_e32 v83, v83, v89
	;; [unrolled: 1-line block ×3, first 2 shown]
	v_fmamk_f16 v73, v65, 0x31e1, v85
	v_fmac_f16_e32 v85, 0xb1e1, v65
	v_fmamk_f16 v79, v65, 0xbb29, v72
	v_fmac_f16_e32 v72, 0x3b29, v65
	v_add_f16_e32 v84, v84, v87
	v_add_f16_e32 v73, v73, v77
	;; [unrolled: 1-line block ×3, first 2 shown]
	v_fmamk_f16 v74, v62, 0x3836, v63
	v_mul_f16_e32 v77, 0x3722, v69
	v_add_f16_e32 v53, v72, v53
	v_fmac_f16_e32 v63, 0xb836, v62
	v_mul_f16_e32 v72, 0x2de8, v69
	v_add_f16_e32 v70, v79, v70
	v_add_f16_e32 v74, v74, v81
	v_fmamk_f16 v79, v62, 0xbb29, v77
	v_fmac_f16_e32 v77, 0x3b29, v62
	v_add_f16_e32 v63, v63, v66
	v_fmamk_f16 v66, v62, 0x3bf7, v72
	v_mul_f16_e32 v81, 0xb8d2, v69
	v_fmac_f16_e32 v72, 0xbbf7, v62
	v_add_f16_e32 v77, v77, v78
	v_mul_f16_e32 v78, 0x3b76, v69
	v_add_f16_e32 v66, v66, v71
	v_fmamk_f16 v71, v62, 0xba62, v81
	v_fmac_f16_e32 v81, 0x3a62, v62
	v_add_f16_e32 v67, v72, v67
	v_mul_f16_e32 v72, 0xbbdd, v69
	v_add_f16_e32 v79, v79, v82
	v_add_f16_e32 v71, v71, v80
	;; [unrolled: 1-line block ×3, first 2 shown]
	v_fmamk_f16 v81, v62, 0x35c8, v78
	v_fmac_f16_e32 v78, 0xb5c8, v62
	v_fmamk_f16 v82, v62, 0x31e1, v72
	v_mul_f16_e32 v83, 0x39e9, v69
	v_add_f16_e32 v64, v64, v68
	v_add_f16_e32 v96, v96, v119
	;; [unrolled: 1-line block ×4, first 2 shown]
	v_fmamk_f16 v82, v62, 0xb964, v83
	v_mul_f16_e32 v68, 0xb461, v69
	v_fmac_f16_e32 v72, 0xb1e1, v62
	v_sub_f16_e32 v60, v60, v61
	v_mul_f16_e32 v61, 0xbbdd, v64
	v_add_f16_e32 v93, v93, v96
	v_fmac_f16_e32 v83, 0x3964, v62
	v_add_f16_e32 v69, v82, v73
	v_fmamk_f16 v73, v62, 0x3bb2, v68
	v_fmac_f16_e32 v68, 0xbbb2, v62
	v_mul_f16_e32 v62, 0x3b76, v64
	v_add_f16_e32 v72, v72, v76
	v_fmamk_f16 v76, v60, 0x31e1, v61
	v_fmac_f16_e32 v61, 0xb1e1, v60
	v_add_f16_e32 v88, v88, v93
	v_add_f16_e32 v70, v73, v70
	;; [unrolled: 1-line block ×3, first 2 shown]
	v_fmamk_f16 v68, v60, 0xb5c8, v62
	v_mul_f16_e32 v73, 0xbacd, v64
	v_fmac_f16_e32 v62, 0x35c8, v60
	v_add_f16_e32 v117, v61, v63
	v_mul_f16_e32 v61, 0x39e9, v64
	v_add_f16_e32 v86, v86, v88
	v_fmamk_f16 v63, v60, 0x3836, v73
	v_add_f16_e32 v119, v62, v77
	v_mul_f16_e32 v62, 0xb8d2, v64
	v_add_f16_e32 v118, v68, v79
	v_fmamk_f16 v68, v60, 0xb964, v61
	v_fmac_f16_e32 v61, 0x3964, v60
	v_add_f16_e32 v81, v81, v86
	v_add_f16_e32 v121, v63, v66
	v_fmamk_f16 v63, v60, 0x3a62, v62
	v_fmac_f16_e32 v62, 0xba62, v60
	v_mul_f16_e32 v66, 0x3722, v64
	v_add_f16_e32 v124, v61, v80
	v_mul_f16_e32 v61, 0xb461, v64
	v_add_f16_e32 v125, v63, v81
	v_add_f16_e32 v126, v62, v75
	v_fmamk_f16 v62, v60, 0xbb29, v66
	v_mul_f16_e32 v63, 0x2de8, v64
	v_add_f16_e32 v65, v83, v65
	v_fmamk_f16 v64, v60, 0x3bb2, v61
	v_fmac_f16_e32 v61, 0xbbb2, v60
	v_add_f16_e32 v127, v62, v78
	v_fmamk_f16 v62, v60, 0xbbf7, v63
	v_fmac_f16_e32 v73, 0xb836, v60
	v_fmac_f16_e32 v66, 0x3b29, v60
	;; [unrolled: 1-line block ×3, first 2 shown]
	v_lshlrev_b32_e32 v60, 1, v12
	v_add_f16_e32 v130, v61, v65
	v_lshlrev_b32_e32 v61, 1, v13
	v_add_f16_e32 v131, v62, v70
	v_lshlrev_b32_e32 v62, 1, v8
	v_add3_u32 v94, 0, v60, v0
	v_add_f16_e32 v98, v76, v74
	v_add3_u32 v95, 0, v61, v0
	v_add_f16_e32 v122, v73, v67
	;; [unrolled: 2-line block ×3, first 2 shown]
	v_add_f16_e32 v128, v66, v72
	v_add_f16_e32 v129, v64, v69
	;; [unrolled: 1-line block ×3, first 2 shown]
	s_waitcnt lgkmcnt(0)
	s_barrier
	buffer_gl0_inv
	ds_read_u16 v68, v94
	ds_read_u16 v74, v95
	;; [unrolled: 1-line block ×3, first 2 shown]
	ds_read_u16 v65, v40 offset:272
	ds_read_u16 v70, v40 offset:306
	;; [unrolled: 1-line block ×4, first 2 shown]
	ds_read_u16 v53, v41
	ds_read_u16 v80, v40 offset:170
	ds_read_u16 v60, v40 offset:238
	;; [unrolled: 1-line block ×25, first 2 shown]
	ds_read_u16 v64, v42
	ds_read_u16 v93, v40 offset:1156
	s_waitcnt lgkmcnt(0)
	s_barrier
	buffer_gl0_inv
	ds_write_b16 v114, v120
	ds_write_b16 v114, v101 offset:14
	ds_write_b16 v114, v103 offset:28
	;; [unrolled: 1-line block ×16, first 2 shown]
	ds_write_b16 v115, v100
	ds_write_b16 v115, v98 offset:14
	ds_write_b16 v115, v118 offset:28
	ds_write_b16 v115, v121 offset:42
	ds_write_b16 v115, v123 offset:56
	ds_write_b16 v115, v125 offset:70
	ds_write_b16 v115, v127 offset:84
	ds_write_b16 v115, v129 offset:98
	ds_write_b16 v115, v131 offset:112
	ds_write_b16 v115, v132 offset:126
	ds_write_b16 v115, v130 offset:140
	ds_write_b16 v115, v128 offset:154
	ds_write_b16 v115, v126 offset:168
	ds_write_b16 v115, v124 offset:182
	ds_write_b16 v115, v122 offset:196
	ds_write_b16 v115, v119 offset:210
	ds_write_b16 v115, v117 offset:224
	s_and_saveexec_b32 s1, s0
	s_cbranch_execz .LBB0_20
; %bb.19:
	v_add_f16_e32 v97, v1, v59
	v_sub_f16_e32 v49, v49, v54
	v_add_f16_e32 v59, v59, v55
	v_sub_f16_e32 v50, v50, v57
	v_add_f16_e32 v57, v58, v56
	v_add_f16_e32 v54, v97, v58
	v_sub_f16_e32 v43, v43, v46
	v_mul_f16_e32 v58, 0x3b76, v59
	v_mul_f16_e32 v97, 0x39e9, v59
	;; [unrolled: 1-line block ×3, first 2 shown]
	v_add_f16_e32 v54, v54, v51
	v_mul_f16_e32 v99, 0x2de8, v59
	v_mul_f16_e32 v100, 0xb461, v59
	v_mul_f16_e32 v101, 0xb8d2, v59
	v_mul_f16_e32 v102, 0xbacd, v59
	v_add_f16_e32 v54, v54, v47
	v_mul_f16_e32 v59, 0xbbdd, v59
	v_mul_f16_e32 v103, 0x39e9, v57
	v_fmamk_f16 v108, v50, 0x35c8, v58
	v_fmac_f16_e32 v58, 0xb5c8, v50
	v_add_f16_e32 v54, v54, v44
	v_fmamk_f16 v109, v50, 0x3964, v97
	v_fmac_f16_e32 v97, 0xb964, v50
	v_fmamk_f16 v110, v50, 0x3b29, v98
	v_fmac_f16_e32 v98, 0xbb29, v50
	v_add_f16_e32 v54, v54, v19
	v_fmamk_f16 v111, v50, 0x3bf7, v99
	v_fmac_f16_e32 v99, 0xbbf7, v50
	;; [unrolled: 5-line block ×4, first 2 shown]
	v_mul_f16_e32 v105, 0xb8d2, v57
	v_mul_f16_e32 v106, 0xbbdd, v57
	v_add_f16_e32 v54, v54, v10
	v_fmamk_f16 v50, v49, 0x3964, v103
	v_fmac_f16_e32 v103, 0xb964, v49
	v_add_f16_e32 v108, v1, v108
	v_add_f16_e32 v58, v1, v58
	;; [unrolled: 1-line block ×20, first 2 shown]
	v_fmamk_f16 v117, v49, 0x3a62, v105
	v_fmac_f16_e32 v105, 0xba62, v49
	v_add_f16_e32 v54, v54, v52
	v_mul_f16_e32 v104, 0x2de8, v57
	v_mul_f16_e32 v107, 0xbacd, v57
	v_add_f16_e32 v51, v51, v52
	v_add_f16_e32 v98, v105, v98
	v_add_f16_e32 v1, v54, v56
	v_add_f16_e32 v54, v103, v58
	v_mul_f16_e32 v103, 0xb461, v57
	v_fmamk_f16 v116, v49, 0x3bf7, v104
	v_fmac_f16_e32 v104, 0xbbf7, v49
	v_add_f16_e32 v1, v1, v55
	v_fmamk_f16 v55, v49, 0x31e1, v106
	v_fmac_f16_e32 v106, 0xb1e1, v49
	v_fmamk_f16 v105, v49, 0xbbb2, v103
	v_fmac_f16_e32 v103, 0x3bb2, v49
	v_mul_f16_e32 v46, 0x3722, v51
	v_add_f16_e32 v50, v50, v108
	v_add_f16_e32 v99, v106, v99
	v_mul_f16_e32 v106, 0x3722, v57
	v_mul_f16_e32 v57, 0x3b76, v57
	v_add_f16_e32 v101, v103, v101
	v_add_f16_e32 v58, v104, v97
	v_fmamk_f16 v104, v49, 0xb836, v107
	v_fmamk_f16 v52, v49, 0xbb29, v106
	v_fmac_f16_e32 v106, 0x3b29, v49
	v_fmamk_f16 v103, v49, 0xb5c8, v57
	v_fmac_f16_e32 v57, 0x35c8, v49
	v_fmac_f16_e32 v107, 0x3836, v49
	v_add_f16_e32 v56, v116, v109
	v_add_f16_e32 v49, v106, v102
	;; [unrolled: 1-line block ×3, first 2 shown]
	v_fmamk_f16 v103, v43, 0x3b29, v46
	v_mul_f16_e32 v106, 0xb8d2, v51
	v_add_f16_e32 v57, v57, v59
	v_fmac_f16_e32 v46, 0xbb29, v43
	v_mul_f16_e32 v59, 0xbbdd, v51
	v_add_f16_e32 v97, v117, v110
	v_add_f16_e32 v100, v107, v100
	;; [unrolled: 1-line block ×3, first 2 shown]
	v_fmamk_f16 v103, v43, 0x3a62, v106
	v_add_f16_e32 v46, v46, v54
	v_fmamk_f16 v54, v43, 0xb1e1, v59
	v_mul_f16_e32 v107, 0xb461, v51
	v_add_f16_e32 v55, v55, v111
	v_add_f16_e32 v56, v103, v56
	v_mul_f16_e32 v103, 0x39e9, v51
	v_add_f16_e32 v54, v54, v97
	v_fmamk_f16 v97, v43, 0xbbb2, v107
	v_fmac_f16_e32 v107, 0x3bb2, v43
	v_add_f16_e32 v104, v104, v112
	v_fmac_f16_e32 v59, 0x31e1, v43
	v_add_f16_e32 v52, v52, v114
	v_add_f16_e32 v55, v97, v55
	v_fmamk_f16 v97, v43, 0xb964, v103
	v_add_f16_e32 v99, v107, v99
	v_mul_f16_e32 v107, 0x2de8, v51
	v_fmac_f16_e32 v106, 0xba62, v43
	v_add_f16_e32 v59, v59, v98
	v_mul_f16_e32 v98, 0x3b76, v51
	v_add_f16_e32 v97, v97, v104
	v_fmamk_f16 v104, v43, 0x3bf7, v107
	v_mul_f16_e32 v51, 0xbacd, v51
	v_add_f16_e32 v47, v47, v48
	v_add_f16_e32 v58, v106, v58
	v_fmamk_f16 v106, v43, 0x35c8, v98
	v_fmac_f16_e32 v98, 0xb5c8, v43
	v_add_f16_e32 v48, v104, v52
	v_fmamk_f16 v52, v43, 0x3836, v51
	v_sub_f16_e32 v18, v18, v23
	v_mul_f16_e32 v23, 0x2de8, v47
	v_fmac_f16_e32 v51, 0xb836, v43
	v_add_f16_e32 v98, v98, v101
	v_fmac_f16_e32 v103, 0x3964, v43
	v_fmac_f16_e32 v107, 0xbbf7, v43
	v_fmamk_f16 v101, v18, 0x3bf7, v23
	v_fmac_f16_e32 v23, 0xbbf7, v18
	v_add_f16_e32 v51, v51, v57
	v_mul_f16_e32 v57, 0xb461, v47
	v_add_f16_e32 v43, v52, v102
	v_mul_f16_e32 v52, 0xbbdd, v47
	v_add_f16_e32 v23, v23, v46
	v_add_f16_e32 v50, v101, v50
	v_fmamk_f16 v46, v18, 0xbbb2, v57
	v_mul_f16_e32 v101, 0x3b76, v47
	v_fmamk_f16 v102, v18, 0x31e1, v52
	v_fmac_f16_e32 v52, 0xb1e1, v18
	v_fmac_f16_e32 v57, 0x3bb2, v18
	v_add_f16_e32 v46, v46, v54
	v_mul_f16_e32 v54, 0x3722, v47
	v_add_f16_e32 v100, v103, v100
	v_add_f16_e32 v56, v102, v56
	;; [unrolled: 1-line block ×3, first 2 shown]
	v_fmamk_f16 v58, v18, 0xb5c8, v101
	v_add_f16_e32 v57, v57, v59
	v_fmac_f16_e32 v101, 0x35c8, v18
	v_mul_f16_e32 v59, 0xbacd, v47
	v_fmamk_f16 v102, v18, 0x3b29, v54
	v_fmac_f16_e32 v54, 0xbb29, v18
	v_add_f16_e32 v55, v58, v55
	v_add_f16_e32 v58, v101, v99
	v_fmamk_f16 v99, v18, 0x3836, v59
	v_fmac_f16_e32 v59, 0xb836, v18
	v_add_f16_e32 v54, v54, v100
	v_mul_f16_e32 v100, 0xb8d2, v47
	v_mul_f16_e32 v47, 0x39e9, v47
	v_add_f16_e32 v44, v44, v45
	v_add_f16_e32 v49, v107, v49
	;; [unrolled: 1-line block ×3, first 2 shown]
	v_fmamk_f16 v45, v18, 0xba62, v100
	v_fmac_f16_e32 v100, 0x3a62, v18
	v_fmamk_f16 v98, v18, 0xb964, v47
	v_sub_f16_e32 v14, v14, v17
	v_mul_f16_e32 v17, 0xb461, v44
	v_fmac_f16_e32 v47, 0x3964, v18
	v_add_f16_e32 v45, v45, v48
	v_add_f16_e32 v18, v100, v49
	v_mul_f16_e32 v49, 0xbacd, v44
	v_fmamk_f16 v48, v14, 0x3bb2, v17
	v_add_f16_e32 v47, v47, v51
	v_fmac_f16_e32 v17, 0xbbb2, v14
	v_mul_f16_e32 v51, 0x39e9, v44
	v_add_f16_e32 v105, v105, v113
	v_add_f16_e32 v43, v98, v43
	;; [unrolled: 1-line block ×3, first 2 shown]
	v_fmamk_f16 v50, v14, 0xb836, v49
	v_fmac_f16_e32 v49, 0x3836, v14
	v_add_f16_e32 v17, v17, v23
	v_fmamk_f16 v23, v14, 0xb964, v51
	v_mul_f16_e32 v98, 0x3722, v44
	v_add_f16_e32 v103, v106, v105
	v_add_f16_e32 v50, v50, v56
	;; [unrolled: 1-line block ×3, first 2 shown]
	v_fmac_f16_e32 v51, 0x3964, v14
	v_add_f16_e32 v23, v23, v46
	v_fmamk_f16 v46, v14, 0x3b29, v98
	v_mul_f16_e32 v52, 0xbbdd, v44
	v_fmac_f16_e32 v98, 0xbb29, v14
	v_mul_f16_e32 v56, 0x2de8, v44
	v_add_f16_e32 v99, v99, v103
	v_add_f16_e32 v51, v51, v57
	v_add_f16_e32 v46, v46, v55
	v_fmamk_f16 v55, v14, 0x31e1, v52
	v_add_f16_e32 v57, v98, v58
	v_fmac_f16_e32 v52, 0xb1e1, v14
	v_fmamk_f16 v58, v14, 0xbbf7, v56
	v_mul_f16_e32 v98, 0x3b76, v44
	v_mul_f16_e32 v44, 0xb8d2, v44
	v_add_f16_e32 v19, v19, v22
	v_add_f16_e32 v52, v52, v54
	v_add_f16_e32 v54, v58, v99
	v_fmamk_f16 v58, v14, 0x35c8, v98
	v_sub_f16_e32 v7, v7, v11
	v_mul_f16_e32 v11, 0xb8d2, v19
	v_fmac_f16_e32 v56, 0x3bf7, v14
	v_fmac_f16_e32 v98, 0xb5c8, v14
	v_add_f16_e32 v22, v58, v45
	v_fmamk_f16 v45, v14, 0x3a62, v44
	v_fmac_f16_e32 v44, 0xba62, v14
	v_add_f16_e32 v15, v15, v16
	v_add_f16_e32 v18, v98, v18
	v_sub_f16_e32 v5, v5, v6
	v_add_f16_e32 v14, v45, v43
	v_mul_f16_e32 v43, 0xb461, v19
	v_fmamk_f16 v45, v7, 0x3a62, v11
	v_fmac_f16_e32 v11, 0xba62, v7
	v_add_f16_e32 v44, v44, v47
	v_mul_f16_e32 v47, 0x3b76, v19
	v_fmamk_f16 v58, v7, 0xbbb2, v43
	v_add_f16_e32 v45, v45, v48
	v_add_f16_e32 v11, v11, v17
	v_fmac_f16_e32 v43, 0x3bb2, v7
	v_fmamk_f16 v17, v7, 0x35c8, v47
	v_add_f16_e32 v48, v58, v50
	v_mul_f16_e32 v50, 0xbacd, v19
	v_fmac_f16_e32 v47, 0xb5c8, v7
	v_add_f16_e32 v43, v43, v49
	v_add_f16_e32 v17, v17, v23
	v_mul_f16_e32 v23, 0x2de8, v19
	v_fmamk_f16 v49, v7, 0x3836, v50
	v_add_f16_e32 v47, v47, v51
	v_fmac_f16_e32 v50, 0xb836, v7
	v_mul_f16_e32 v51, 0x39e9, v19
	v_fmamk_f16 v58, v7, 0xbbf7, v23
	v_fmac_f16_e32 v23, 0x3bf7, v7
	v_add_f16_e32 v46, v49, v46
	v_add_f16_e32 v49, v50, v57
	v_fmamk_f16 v50, v7, 0x3964, v51
	v_mul_f16_e32 v6, 0xbacd, v15
	v_add_f16_e32 v23, v23, v52
	v_mul_f16_e32 v52, 0xbbdd, v19
	v_mul_f16_e32 v19, 0x3722, v19
	v_add_f16_e32 v50, v50, v54
	v_fmac_f16_e32 v51, 0xb964, v7
	v_add_f16_e32 v9, v9, v10
	v_fmamk_f16 v16, v7, 0x31e1, v52
	v_fmac_f16_e32 v52, 0xb1e1, v7
	v_fmamk_f16 v54, v7, 0xbb29, v19
	v_fmac_f16_e32 v19, 0x3b29, v7
	v_sub_f16_e32 v3, v3, v4
	v_add_f16_e32 v16, v16, v22
	v_add_f16_e32 v7, v52, v18
	v_fmamk_f16 v18, v5, 0x3836, v6
	v_mul_f16_e32 v22, 0x3722, v15
	v_add_f16_e32 v19, v19, v44
	v_fmac_f16_e32 v6, 0xb836, v5
	v_mul_f16_e32 v44, 0x2de8, v15
	v_add_f16_e32 v18, v18, v45
	v_fmamk_f16 v45, v5, 0xbb29, v22
	v_fmac_f16_e32 v22, 0x3b29, v5
	v_add_f16_e32 v6, v6, v11
	v_fmamk_f16 v11, v5, 0x3bf7, v44
	v_mul_f16_e32 v52, 0xb8d2, v15
	v_fmac_f16_e32 v44, 0xbbf7, v5
	v_add_f16_e32 v22, v22, v43
	v_mul_f16_e32 v43, 0x3b76, v15
	v_add_f16_e32 v11, v11, v17
	v_fmamk_f16 v17, v5, 0xba62, v52
	v_fmac_f16_e32 v52, 0x3a62, v5
	v_add_f16_e32 v44, v44, v47
	v_mul_f16_e32 v47, 0xbbdd, v15
	v_add_f16_e32 v45, v45, v48
	v_add_f16_e32 v17, v17, v46
	v_fmamk_f16 v46, v5, 0x35c8, v43
	v_add_f16_e32 v48, v52, v49
	v_fmac_f16_e32 v43, 0xb5c8, v5
	v_fmamk_f16 v49, v5, 0x31e1, v47
	v_mul_f16_e32 v52, 0x39e9, v15
	v_mul_f16_e32 v15, 0xb461, v15
	v_fmac_f16_e32 v47, 0xb1e1, v5
	v_add_f16_e32 v23, v43, v23
	v_add_f16_e32 v43, v49, v50
	v_fmamk_f16 v49, v5, 0xb964, v52
	v_fmac_f16_e32 v52, 0x3964, v5
	v_add_f16_e32 v97, v102, v97
	v_add_f16_e32 v14, v54, v14
	v_mul_f16_e32 v4, 0xbbdd, v9
	v_add_f16_e32 v10, v49, v16
	v_fmamk_f16 v16, v5, 0x3bb2, v15
	v_fmac_f16_e32 v15, 0xbbb2, v5
	v_mul_f16_e32 v5, 0x3b76, v9
	v_add_f16_e32 v55, v55, v97
	v_mul_f16_e32 v49, 0xbacd, v9
	v_add_f16_e32 v14, v16, v14
	v_add_f16_e32 v15, v15, v19
	v_fmamk_f16 v19, v3, 0xb5c8, v5
	v_fmac_f16_e32 v5, 0x35c8, v3
	v_fmamk_f16 v16, v3, 0x31e1, v4
	v_fmac_f16_e32 v4, 0xb1e1, v3
	v_add_f16_e32 v56, v56, v59
	v_add_f16_e32 v55, v58, v55
	;; [unrolled: 1-line block ×3, first 2 shown]
	v_mul_f16_e32 v22, 0xb8d2, v9
	v_add_f16_e32 v16, v16, v18
	v_add_f16_e32 v4, v4, v6
	;; [unrolled: 1-line block ×3, first 2 shown]
	v_fmamk_f16 v18, v3, 0x3836, v49
	v_fmac_f16_e32 v49, 0xb836, v3
	v_mul_f16_e32 v19, 0x39e9, v9
	v_fmamk_f16 v45, v3, 0x3a62, v22
	v_fmac_f16_e32 v22, 0xba62, v3
	v_add_f16_e32 v51, v51, v56
	v_add_f16_e32 v46, v46, v55
	;; [unrolled: 1-line block ×4, first 2 shown]
	v_fmamk_f16 v44, v3, 0xb964, v19
	v_mul_f16_e32 v49, 0x3722, v9
	v_add_f16_e32 v22, v22, v23
	v_mov_b32_e32 v23, 1
	v_add_f16_e32 v47, v47, v51
	v_add_f16_e32 v17, v44, v17
	;; [unrolled: 1-line block ×3, first 2 shown]
	v_fmamk_f16 v45, v3, 0xbb29, v49
	v_fmac_f16_e32 v49, 0x3b29, v3
	v_mul_f16_e32 v46, 0xb461, v9
	v_mul_f16_e32 v9, 0x2de8, v9
	v_lshlrev_b32_sdwa v2, v23, v2 dst_sel:DWORD dst_unused:UNUSED_PAD src0_sel:DWORD src1_sel:BYTE_0
	v_add_f16_e32 v7, v52, v7
	v_fmac_f16_e32 v19, 0x3964, v3
	v_add_f16_e32 v43, v45, v43
	v_add_f16_e32 v45, v49, v47
	v_fmamk_f16 v23, v3, 0x3bb2, v46
	v_fmac_f16_e32 v46, 0xbbb2, v3
	v_fmamk_f16 v47, v3, 0xbbf7, v9
	v_fmac_f16_e32 v9, 0x3bf7, v3
	v_add3_u32 v0, 0, v2, v0
	v_add_f16_e32 v19, v19, v48
	v_add_f16_e32 v2, v23, v10
	;; [unrolled: 1-line block ×5, first 2 shown]
	ds_write_b16 v0, v1 offset:952
	ds_write_b16 v0, v16 offset:966
	;; [unrolled: 1-line block ×17, first 2 shown]
.LBB0_20:
	s_or_b32 exec_lo, exec_lo, s1
	s_waitcnt lgkmcnt(0)
	s_barrier
	buffer_gl0_inv
	s_and_saveexec_b32 s0, vcc_lo
	s_cbranch_execz .LBB0_22
; %bb.21:
	v_lshlrev_b32_e32 v22, 2, v24
	v_mov_b32_e32 v23, 0
	v_lshlrev_b64 v[0:1], 2, v[22:23]
	v_lshlrev_b32_e32 v22, 2, v25
	v_add_co_u32 v0, vcc_lo, s8, v0
	v_add_co_ci_u32_e32 v1, vcc_lo, s9, v1, vcc_lo
	global_load_dwordx4 v[4:7], v[0:1], off offset:448
	v_lshlrev_b64 v[0:1], 2, v[22:23]
	v_lshlrev_b32_e32 v22, 2, v8
	v_lshlrev_b64 v[8:9], 2, v[22:23]
	v_add_co_u32 v0, vcc_lo, s8, v0
	v_add_co_ci_u32_e32 v1, vcc_lo, s9, v1, vcc_lo
	v_lshlrev_b32_e32 v22, 2, v13
	v_add_co_u32 v8, vcc_lo, s8, v8
	global_load_dwordx4 v[0:3], v[0:1], off offset:448
	v_add_co_ci_u32_e32 v9, vcc_lo, s9, v9, vcc_lo
	v_lshlrev_b64 v[13:14], 2, v[22:23]
	v_lshlrev_b32_e32 v22, 2, v12
	global_load_dwordx4 v[8:11], v[8:9], off offset:448
	v_add_co_u32 v13, vcc_lo, s8, v13
	v_add_co_ci_u32_e32 v14, vcc_lo, s9, v14, vcc_lo
	global_load_dwordx4 v[16:19], v[13:14], off offset:448
	v_lshlrev_b64 v[12:13], 2, v[22:23]
	v_lshlrev_b32_e32 v22, 2, v39
	v_add_co_u32 v12, vcc_lo, s8, v12
	v_add_co_ci_u32_e32 v13, vcc_lo, s9, v13, vcc_lo
	global_load_dwordx4 v[12:15], v[12:13], off offset:448
	ds_read_u16 v44, v40 offset:680
	ds_read_u16 v45, v40 offset:918
	;; [unrolled: 1-line block ×11, first 2 shown]
	ds_read_u16 v39, v96
	ds_read_u16 v54, v95
	;; [unrolled: 1-line block ×3, first 2 shown]
	ds_read_u16 v55, v40 offset:1156
	ds_read_u16 v96, v42
	v_lshlrev_b64 v[42:43], 2, v[22:23]
	v_lshlrev_b32_e32 v22, 2, v36
	ds_read_u16 v56, v40 offset:374
	ds_read_u16 v57, v40 offset:340
	;; [unrolled: 1-line block ×12, first 2 shown]
	ds_read_u16 v94, v41
	v_lshlrev_b64 v[22:23], 2, v[22:23]
	v_add_co_u32 v42, vcc_lo, s8, v42
	v_add_co_ci_u32_e32 v43, vcc_lo, s9, v43, vcc_lo
	v_add_co_u32 v22, vcc_lo, s8, v22
	v_add_co_ci_u32_e32 v23, vcc_lo, s9, v23, vcc_lo
	s_clause 0x1
	global_load_dwordx4 v[98:101], v[42:43], off offset:448
	global_load_dwordx4 v[102:105], v[22:23], off offset:448
	ds_read_u16 v42, v40 offset:1122
	ds_read_u16 v145, v40 offset:986
	s_waitcnt vmcnt(6)
	v_mul_f16_sdwa v41, v93, v7 dst_sel:DWORD dst_unused:UNUSED_PAD src0_sel:DWORD src1_sel:WORD_1
	v_mul_f16_sdwa v43, v91, v6 dst_sel:DWORD dst_unused:UNUSED_PAD src0_sel:DWORD src1_sel:WORD_1
	;; [unrolled: 1-line block ×3, first 2 shown]
	s_waitcnt lgkmcnt(16)
	v_mul_f16_sdwa v116, v55, v7 dst_sel:DWORD dst_unused:UNUSED_PAD src0_sel:DWORD src1_sel:WORD_1
	v_mul_f16_sdwa v117, v44, v5 dst_sel:DWORD dst_unused:UNUSED_PAD src0_sel:DWORD src1_sel:WORD_1
	v_mul_f16_sdwa v118, v45, v6 dst_sel:DWORD dst_unused:UNUSED_PAD src0_sel:DWORD src1_sel:WORD_1
	v_fma_f16 v41, v55, v7, -v41
	v_fma_f16 v43, v45, v6, -v43
	ds_read_u16 v45, v40 offset:1088
	v_mul_f16_sdwa v22, v90, v4 dst_sel:DWORD dst_unused:UNUSED_PAD src0_sel:DWORD src1_sel:WORD_1
	v_mul_f16_sdwa v115, v51, v4 dst_sel:DWORD dst_unused:UNUSED_PAD src0_sel:DWORD src1_sel:WORD_1
	v_fma_f16 v23, v44, v5, -v23
	v_fmac_f16_e32 v117, v92, v5
	v_fmac_f16_e32 v116, v93, v7
	v_fma_f16 v22, v51, v4, -v22
	s_waitcnt vmcnt(5)
	v_mul_f16_sdwa v55, v47, v1 dst_sel:DWORD dst_unused:UNUSED_PAD src0_sel:DWORD src1_sel:WORD_1
	v_mul_f16_sdwa v5, v87, v1 dst_sel:DWORD dst_unused:UNUSED_PAD src0_sel:DWORD src1_sel:WORD_1
	v_fmac_f16_e32 v115, v90, v4
	v_fmac_f16_e32 v118, v91, v6
	v_mul_f16_sdwa v4, v86, v0 dst_sel:DWORD dst_unused:UNUSED_PAD src0_sel:DWORD src1_sel:WORD_1
	v_fmac_f16_e32 v55, v87, v1
	ds_read_u16 v87, v40 offset:1054
	v_mul_f16_sdwa v6, v88, v3 dst_sel:DWORD dst_unused:UNUSED_PAD src0_sel:DWORD src1_sel:WORD_1
	v_mul_f16_sdwa v7, v89, v2 dst_sel:DWORD dst_unused:UNUSED_PAD src0_sel:DWORD src1_sel:WORD_1
	;; [unrolled: 1-line block ×3, first 2 shown]
	s_waitcnt lgkmcnt(3)
	v_mul_f16_sdwa v51, v42, v3 dst_sel:DWORD dst_unused:UNUSED_PAD src0_sel:DWORD src1_sel:WORD_1
	v_mul_f16_sdwa v90, v58, v2 dst_sel:DWORD dst_unused:UNUSED_PAD src0_sel:DWORD src1_sel:WORD_1
	v_sub_f16_e32 v91, v22, v23
	v_add_f16_e32 v93, v23, v43
	v_sub_f16_e32 v119, v115, v116
	v_sub_f16_e32 v121, v115, v117
	v_add_f16_e32 v123, v117, v118
	v_sub_f16_e32 v124, v22, v41
	;; [unrolled: 3-line block ×3, first 2 shown]
	v_add_f16_e32 v131, v115, v116
	v_add_f16_e32 v22, v22, v46
	;; [unrolled: 1-line block ×3, first 2 shown]
	v_fma_f16 v4, v52, v0, -v4
	v_fma_f16 v47, v47, v1, -v5
	;; [unrolled: 1-line block ×4, first 2 shown]
	v_fmac_f16_e32 v44, v86, v0
	v_fmac_f16_e32 v51, v88, v3
	;; [unrolled: 1-line block ×3, first 2 shown]
	s_waitcnt vmcnt(4)
	v_mul_f16_sdwa v5, v81, v8 dst_sel:DWORD dst_unused:UNUSED_PAD src0_sel:DWORD src1_sel:WORD_1
	v_mul_f16_sdwa v6, v82, v9 dst_sel:DWORD dst_unused:UNUSED_PAD src0_sel:DWORD src1_sel:WORD_1
	;; [unrolled: 1-line block ×6, first 2 shown]
	v_sub_f16_e32 v92, v41, v43
	v_sub_f16_e32 v120, v117, v118
	;; [unrolled: 1-line block ×6, first 2 shown]
	v_mul_f16_sdwa v86, v56, v8 dst_sel:DWORD dst_unused:UNUSED_PAD src0_sel:DWORD src1_sel:WORD_1
	s_waitcnt lgkmcnt(1)
	v_mul_f16_sdwa v88, v45, v11 dst_sel:DWORD dst_unused:UNUSED_PAD src0_sel:DWORD src1_sel:WORD_1
	v_fma_f16 v2, -0.5, v93, v46
	v_fma_f16 v3, -0.5, v123, v85
	;; [unrolled: 1-line block ×4, first 2 shown]
	v_add_f16_e32 v22, v23, v22
	v_add_f16_e32 v23, v115, v117
	v_sub_f16_e32 v46, v4, v47
	v_sub_f16_e32 v85, v52, v42
	;; [unrolled: 1-line block ×4, first 2 shown]
	v_add_f16_e32 v133, v4, v52
	v_sub_f16_e32 v134, v55, v44
	v_add_f16_e32 v136, v44, v51
	v_add_f16_e32 v137, v4, v114
	;; [unrolled: 1-line block ×3, first 2 shown]
	v_fma_f16 v56, v56, v8, -v5
	v_fma_f16 v48, v48, v9, -v6
	;; [unrolled: 1-line block ×4, first 2 shown]
	v_fmac_f16_e32 v89, v82, v9
	ds_read_u16 v82, v40 offset:1020
	v_fmac_f16_e32 v132, v84, v10
	v_add_f16_e32 v91, v91, v92
	v_add_f16_e32 v92, v121, v122
	;; [unrolled: 1-line block ×5, first 2 shown]
	v_sub_f16_e32 v122, v55, v90
	v_sub_f16_e32 v126, v51, v90
	v_add_f16_e32 v127, v55, v90
	v_sub_f16_e32 v129, v47, v42
	v_sub_f16_e32 v130, v47, v4
	v_sub_f16_e32 v131, v42, v52
	v_sub_f16_e32 v135, v90, v51
	v_fmac_f16_e32 v86, v81, v8
	v_fmac_f16_e32 v88, v83, v11
	s_waitcnt vmcnt(3)
	v_mul_f16_sdwa v45, v78, v19 dst_sel:DWORD dst_unused:UNUSED_PAD src0_sel:DWORD src1_sel:WORD_1
	v_mul_f16_sdwa v81, v57, v16 dst_sel:DWORD dst_unused:UNUSED_PAD src0_sel:DWORD src1_sel:WORD_1
	s_waitcnt lgkmcnt(1)
	v_mul_f16_sdwa v83, v87, v19 dst_sel:DWORD dst_unused:UNUSED_PAD src0_sel:DWORD src1_sel:WORD_1
	v_mul_f16_sdwa v84, v49, v17 dst_sel:DWORD dst_unused:UNUSED_PAD src0_sel:DWORD src1_sel:WORD_1
	v_add_f16_e32 v85, v46, v85
	v_fma_f16 v10, -0.5, v133, v114
	v_add_f16_e32 v46, v47, v137
	v_add_f16_e32 v44, v44, v55
	v_sub_f16_e32 v47, v56, v48
	v_sub_f16_e32 v55, v138, v58
	v_add_f16_e32 v133, v89, v132
	v_mul_f16_sdwa v8, v76, v16 dst_sel:DWORD dst_unused:UNUSED_PAD src0_sel:DWORD src1_sel:WORD_1
	v_mul_f16_sdwa v9, v77, v17 dst_sel:DWORD dst_unused:UNUSED_PAD src0_sel:DWORD src1_sel:WORD_1
	v_fmamk_f16 v6, v120, 0xbb9c, v0
	v_add_f16_e32 v43, v43, v22
	v_add_f16_e32 v118, v23, v118
	v_fmac_f16_e32 v0, 0x3b9c, v120
	v_fma_f16 v22, -0.5, v115, v114
	v_add_f16_e32 v115, v123, v126
	v_fma_f16 v23, -0.5, v127, v80
	v_add_f16_e32 v123, v130, v131
	v_add_f16_e32 v114, v134, v135
	v_fma_f16 v11, -0.5, v136, v80
	v_add_f16_e32 v80, v48, v58
	v_sub_f16_e32 v126, v86, v88
	v_sub_f16_e32 v130, v86, v89
	v_sub_f16_e32 v134, v56, v138
	v_sub_f16_e32 v136, v48, v56
	v_sub_f16_e32 v137, v58, v138
	v_add_f16_e32 v140, v56, v138
	v_sub_f16_e32 v141, v89, v86
	v_sub_f16_e32 v142, v132, v88
	v_add_f16_e32 v143, v86, v88
	v_add_f16_e32 v56, v56, v39
	;; [unrolled: 1-line block ×3, first 2 shown]
	v_fma_f16 v87, v87, v19, -v45
	v_fmac_f16_e32 v81, v76, v16
	v_fmac_f16_e32 v83, v78, v19
	;; [unrolled: 1-line block ×3, first 2 shown]
	s_waitcnt vmcnt(2)
	v_mul_f16_sdwa v45, v71, v13 dst_sel:DWORD dst_unused:UNUSED_PAD src0_sel:DWORD src1_sel:WORD_1
	v_add_f16_e32 v76, v47, v55
	v_fma_f16 v47, -0.5, v133, v75
	v_sub_f16_e32 v128, v4, v52
	v_mul_f16_sdwa v139, v110, v18 dst_sel:DWORD dst_unused:UNUSED_PAD src0_sel:DWORD src1_sel:WORD_1
	v_fmamk_f16 v4, v119, 0xbb9c, v2
	v_fmac_f16_e32 v2, 0x3b9c, v119
	v_sub_f16_e32 v127, v89, v132
	v_sub_f16_e32 v131, v88, v132
	;; [unrolled: 1-line block ×3, first 2 shown]
	v_fma_f16 v57, v57, v16, -v8
	v_fma_f16 v144, v49, v17, -v9
	v_mul_f16_sdwa v49, v73, v14 dst_sel:DWORD dst_unused:UNUSED_PAD src0_sel:DWORD src1_sel:WORD_1
	v_mul_f16_sdwa v147, v50, v13 dst_sel:DWORD dst_unused:UNUSED_PAD src0_sel:DWORD src1_sel:WORD_1
	;; [unrolled: 1-line block ×3, first 2 shown]
	v_fmac_f16_e32 v6, 0x38b4, v119
	v_add_f16_e32 v8, v41, v43
	v_add_f16_e32 v9, v116, v118
	v_fmac_f16_e32 v0, 0xb8b4, v119
	v_add_f16_e32 v41, v42, v46
	v_add_f16_e32 v44, v44, v90
	v_fma_f16 v46, -0.5, v80, v39
	v_add_f16_e32 v90, v136, v137
	v_add_f16_e32 v116, v141, v142
	;; [unrolled: 1-line block ×4, first 2 shown]
	v_sub_f16_e32 v89, v81, v83
	v_sub_f16_e32 v119, v81, v84
	;; [unrolled: 1-line block ×3, first 2 shown]
	v_add_f16_e32 v141, v81, v83
	v_add_f16_e32 v81, v74, v81
	v_fma_f16 v142, v50, v13, -v45
	v_fmamk_f16 v45, v134, 0x3b9c, v47
	v_fmac_f16_e32 v47, 0xbb9c, v134
	v_mul_f16_sdwa v59, v79, v18 dst_sel:DWORD dst_unused:UNUSED_PAD src0_sel:DWORD src1_sel:WORD_1
	v_fmac_f16_e32 v139, v79, v18
	v_mul_f16_sdwa v77, v70, v12 dst_sel:DWORD dst_unused:UNUSED_PAD src0_sel:DWORD src1_sel:WORD_1
	v_mul_f16_sdwa v78, v72, v15 dst_sel:DWORD dst_unused:UNUSED_PAD src0_sel:DWORD src1_sel:WORD_1
	v_mul_f16_sdwa v79, v107, v12 dst_sel:DWORD dst_unused:UNUSED_PAD src0_sel:DWORD src1_sel:WORD_1
	s_waitcnt lgkmcnt(0)
	v_mul_f16_sdwa v146, v82, v15 dst_sel:DWORD dst_unused:UNUSED_PAD src0_sel:DWORD src1_sel:WORD_1
	v_add_f16_e32 v80, v130, v131
	v_fma_f16 v42, -0.5, v140, v39
	v_fma_f16 v111, v111, v14, -v49
	v_add_f16_e32 v39, v52, v41
	v_add_f16_e32 v41, v51, v44
	v_fmamk_f16 v44, v126, 0xbb9c, v46
	v_fmac_f16_e32 v46, 0x3b9c, v126
	v_add_f16_e32 v81, v81, v84
	v_fmac_f16_e32 v45, 0x38b4, v135
	v_fmac_f16_e32 v47, 0xb8b4, v135
	;; [unrolled: 1-line block ×4, first 2 shown]
	v_fmamk_f16 v16, v117, 0xbb9c, v22
	v_fmac_f16_e32 v22, 0x3b9c, v117
	v_fmac_f16_e32 v44, 0xb8b4, v127
	;; [unrolled: 1-line block ×3, first 2 shown]
	v_add_f16_e32 v81, v81, v139
	v_fmac_f16_e32 v45, 0x34f2, v80
	v_fmac_f16_e32 v47, 0x34f2, v80
	v_add_f16_e32 v80, v142, v111
	v_fmac_f16_e32 v79, v70, v12
	v_fmac_f16_e32 v146, v72, v15
	v_fma_f16 v12, v107, v12, -v77
	v_fma_f16 v13, v82, v15, -v78
	v_add_f16_e32 v14, v147, v148
	v_fmamk_f16 v7, v125, 0x3b9c, v1
	v_fmac_f16_e32 v1, 0xbb9c, v125
	v_fmac_f16_e32 v16, 0xb8b4, v122
	;; [unrolled: 1-line block ×5, first 2 shown]
	v_add_f16_e32 v76, v83, v81
	v_fma_f16 v71, -0.5, v80, v95
	v_sub_f16_e32 v80, v79, v146
	v_sub_f16_e32 v70, v12, v142
	;; [unrolled: 1-line block ×3, first 2 shown]
	v_fma_f16 v72, -0.5, v14, v68
	v_sub_f16_e32 v81, v12, v13
	v_sub_f16_e32 v77, v79, v147
	;; [unrolled: 1-line block ×3, first 2 shown]
	v_fmamk_f16 v5, v124, 0x3b9c, v3
	v_fmac_f16_e32 v3, 0xbb9c, v124
	v_fmac_f16_e32 v4, 0xb8b4, v120
	;; [unrolled: 1-line block ×5, first 2 shown]
	v_sub_f16_e32 v118, v84, v139
	v_sub_f16_e32 v120, v83, v139
	v_add_f16_e32 v124, v84, v139
	v_sub_f16_e32 v140, v139, v83
	v_fmac_f16_e32 v16, 0x34f2, v85
	v_fmac_f16_e32 v22, 0x34f2, v85
	v_fmamk_f16 v14, v80, 0xbb9c, v71
	v_sub_f16_e32 v82, v147, v148
	v_fmamk_f16 v15, v81, 0x3b9c, v72
	v_sub_f16_e32 v83, v142, v111
	v_add_f16_e32 v70, v70, v73
	v_fmac_f16_e32 v71, 0x3b9c, v80
	v_add_f16_e32 v73, v77, v78
	v_add_f16_e32 v77, v12, v13
	v_fmac_f16_e32 v72, 0xbb9c, v81
	v_sub_f16_e32 v78, v142, v12
	v_sub_f16_e32 v84, v111, v13
	v_add_f16_e32 v85, v79, v146
	v_add_f16_e32 v12, v12, v95
	v_fmac_f16_e32 v14, 0xb8b4, v82
	v_fmac_f16_e32 v15, 0x38b4, v83
	;; [unrolled: 1-line block ×3, first 2 shown]
	v_fma_f16 v77, -0.5, v77, v95
	v_fmac_f16_e32 v72, 0xb8b4, v83
	v_add_f16_e32 v84, v78, v84
	v_fma_f16 v78, -0.5, v85, v68
	v_add_f16_e32 v12, v142, v12
	v_fma_f16 v110, v110, v18, -v59
	v_fmac_f16_e32 v14, 0x34f2, v70
	v_fmac_f16_e32 v15, 0x34f2, v73
	;; [unrolled: 1-line block ×3, first 2 shown]
	v_fmamk_f16 v70, v82, 0x3b9c, v77
	v_fmac_f16_e32 v72, 0x34f2, v73
	v_fmac_f16_e32 v77, 0xbb9c, v82
	v_sub_f16_e32 v82, v147, v79
	v_sub_f16_e32 v85, v148, v146
	v_fmamk_f16 v73, v83, 0xbb9c, v78
	v_add_f16_e32 v12, v111, v12
	v_fmac_f16_e32 v78, 0x3b9c, v83
	v_add_f16_e32 v68, v68, v79
	v_fma_f16 v43, -0.5, v143, v75
	v_sub_f16_e32 v59, v57, v144
	v_sub_f16_e32 v75, v87, v110
	v_add_f16_e32 v86, v144, v110
	v_fmac_f16_e32 v70, 0xb8b4, v80
	v_fmac_f16_e32 v77, 0x38b4, v80
	v_add_f16_e32 v80, v82, v85
	v_fmac_f16_e32 v73, 0x38b4, v81
	v_add_f16_e32 v79, v13, v12
	;; [unrolled: 2-line block ×3, first 2 shown]
	s_waitcnt vmcnt(1)
	v_mul_f16_sdwa v68, v66, v99 dst_sel:DWORD dst_unused:UNUSED_PAD src0_sel:DWORD src1_sel:WORD_1
	v_mul_f16_sdwa v81, v69, v100 dst_sel:DWORD dst_unused:UNUSED_PAD src0_sel:DWORD src1_sel:WORD_1
	v_fmac_f16_e32 v4, 0x34f2, v91
	v_fmac_f16_e32 v2, 0x34f2, v91
	v_add_f16_e32 v91, v59, v75
	v_fma_f16 v59, -0.5, v86, v54
	v_fmac_f16_e32 v73, 0x34f2, v80
	v_mul_f16_sdwa v13, v65, v98 dst_sel:DWORD dst_unused:UNUSED_PAD src0_sel:DWORD src1_sel:WORD_1
	v_fmac_f16_e32 v78, 0x34f2, v80
	v_fma_f16 v68, v97, v99, -v68
	v_fma_f16 v80, v112, v100, -v81
	v_mul_f16_sdwa v82, v67, v101 dst_sel:DWORD dst_unused:UNUSED_PAD src0_sel:DWORD src1_sel:WORD_1
	v_mul_f16_sdwa v83, v145, v101 dst_sel:DWORD dst_unused:UNUSED_PAD src0_sel:DWORD src1_sel:WORD_1
	v_fmac_f16_e32 v5, 0x38b4, v125
	v_fmac_f16_e32 v3, 0xb8b4, v125
	v_sub_f16_e32 v125, v57, v87
	v_add_f16_e32 v136, v57, v87
	v_fma_f16 v75, -0.5, v124, v74
	v_fmamk_f16 v52, v89, 0xbb9c, v59
	v_fmac_f16_e32 v59, 0x3b9c, v89
	v_fmac_f16_e32 v70, 0x34f2, v84
	v_fmac_f16_e32 v77, 0x34f2, v84
	v_add_f16_e32 v12, v12, v148
	v_fma_f16 v13, v108, v98, -v13
	v_mul_f16_sdwa v81, v108, v98 dst_sel:DWORD dst_unused:UNUSED_PAD src0_sel:DWORD src1_sel:WORD_1
	v_add_f16_e32 v84, v68, v80
	v_mul_f16_sdwa v85, v112, v100 dst_sel:DWORD dst_unused:UNUSED_PAD src0_sel:DWORD src1_sel:WORD_1
	v_fmac_f16_e32 v83, v67, v101
	v_fma_f16 v67, v145, v101, -v82
	v_sub_f16_e32 v130, v144, v110
	v_sub_f16_e32 v131, v144, v57
	v_add_f16_e32 v57, v57, v54
	v_add_f16_e32 v50, v58, v55
	v_fma_f16 v55, -0.5, v136, v54
	v_fmamk_f16 v54, v125, 0x3b9c, v75
	v_fmac_f16_e32 v75, 0xbb9c, v125
	v_fmac_f16_e32 v52, 0xb8b4, v118
	;; [unrolled: 1-line block ×4, first 2 shown]
	v_mul_f16_sdwa v65, v97, v99 dst_sel:DWORD dst_unused:UNUSED_PAD src0_sel:DWORD src1_sel:WORD_1
	v_fma_f16 v82, -0.5, v84, v96
	v_fmac_f16_e32 v85, v69, v100
	v_add_f16_e32 v84, v146, v12
	v_sub_f16_e32 v12, v13, v68
	v_sub_f16_e32 v69, v67, v80
	;; [unrolled: 1-line block ×3, first 2 shown]
	v_fmamk_f16 v48, v127, 0x3b9c, v42
	v_fmac_f16_e32 v42, 0xbb9c, v127
	v_add_f16_e32 v51, v56, v132
	v_add_f16_e32 v86, v119, v120
	v_fma_f16 v56, -0.5, v141, v74
	v_add_f16_e32 v74, v144, v57
	v_fmamk_f16 v57, v118, 0x3b9c, v55
	v_fmac_f16_e32 v55, 0xbb9c, v118
	v_fmac_f16_e32 v54, 0x38b4, v130
	;; [unrolled: 1-line block ×5, first 2 shown]
	ds_read_u16 v40, v40 offset:952
	v_fmac_f16_e32 v65, v66, v99
	v_sub_f16_e32 v91, v13, v67
	v_add_f16_e32 v12, v12, v69
	v_add_f16_e32 v69, v13, v67
	v_sub_f16_e32 v95, v68, v13
	v_add_f16_e32 v13, v13, v96
	v_fmac_f16_e32 v5, 0x34f2, v92
	v_fmac_f16_e32 v3, 0x34f2, v92
	v_add_f16_e32 v92, v131, v133
	v_fmac_f16_e32 v48, 0xb8b4, v126
	v_fmac_f16_e32 v42, 0x38b4, v126
	v_fmamk_f16 v58, v130, 0xbb9c, v56
	v_fmac_f16_e32 v56, 0x3b9c, v130
	v_fmac_f16_e32 v57, 0xb8b4, v89
	;; [unrolled: 1-line block ×5, first 2 shown]
	v_add_f16_e32 v86, v65, v85
	v_add_f16_e32 v13, v68, v13
	v_fmac_f16_e32 v6, 0x34f2, v93
	v_fmac_f16_e32 v0, 0x34f2, v93
	v_add_f16_e32 v93, v137, v140
	v_add_f16_e32 v74, v110, v74
	v_fmac_f16_e32 v48, 0x34f2, v90
	v_fmac_f16_e32 v42, 0x34f2, v90
	;; [unrolled: 1-line block ×6, first 2 shown]
	v_sub_f16_e32 v66, v81, v83
	v_sub_f16_e32 v89, v81, v65
	;; [unrolled: 1-line block ×3, first 2 shown]
	v_fma_f16 v86, -0.5, v86, v64
	v_add_f16_e32 v92, v81, v83
	v_add_f16_e32 v13, v80, v13
	;; [unrolled: 1-line block ×4, first 2 shown]
	v_fmac_f16_e32 v58, 0x34f2, v93
	v_fmac_f16_e32 v56, 0x34f2, v93
	v_fmamk_f16 v87, v66, 0xbb9c, v82
	v_sub_f16_e32 v88, v65, v85
	v_add_f16_e32 v89, v89, v90
	v_fmamk_f16 v90, v91, 0x3b9c, v86
	v_fma_f16 v93, -0.5, v69, v96
	v_sub_f16_e32 v69, v68, v80
	v_sub_f16_e32 v97, v80, v67
	v_fma_f16 v92, -0.5, v92, v64
	v_fmac_f16_e32 v82, 0x3b9c, v66
	v_fmac_f16_e32 v86, 0xbb9c, v91
	v_add_f16_e32 v80, v67, v13
	s_waitcnt vmcnt(0)
	v_mul_f16_sdwa v67, v106, v103 dst_sel:DWORD dst_unused:UNUSED_PAD src0_sel:DWORD src1_sel:WORD_1
	v_mul_f16_sdwa v68, v113, v104 dst_sel:DWORD dst_unused:UNUSED_PAD src0_sel:DWORD src1_sel:WORD_1
	v_fmac_f16_e32 v87, 0xb8b4, v88
	v_fmamk_f16 v98, v88, 0x3b9c, v93
	v_sub_f16_e32 v99, v65, v81
	v_fmac_f16_e32 v90, 0x38b4, v69
	v_fmamk_f16 v101, v69, 0xbb9c, v92
	v_fmac_f16_e32 v93, 0xbb9c, v88
	v_fmac_f16_e32 v92, 0x3b9c, v69
	;; [unrolled: 1-line block ×3, first 2 shown]
	v_add_f16_e32 v64, v64, v81
	v_fmac_f16_e32 v86, 0xb8b4, v69
	v_mul_f16_sdwa v69, v109, v102 dst_sel:DWORD dst_unused:UNUSED_PAD src0_sel:DWORD src1_sel:WORD_1
	s_waitcnt lgkmcnt(0)
	v_mul_f16_sdwa v81, v40, v105 dst_sel:DWORD dst_unused:UNUSED_PAD src0_sel:DWORD src1_sel:WORD_1
	v_fmac_f16_e32 v67, v62, v103
	v_fmac_f16_e32 v68, v63, v104
	v_add_f16_e32 v95, v95, v97
	v_fmac_f16_e32 v98, 0xb8b4, v66
	v_fmac_f16_e32 v87, 0x34f2, v12
	;; [unrolled: 1-line block ×4, first 2 shown]
	v_add_f16_e32 v12, v64, v65
	v_mul_f16_sdwa v65, v60, v102 dst_sel:DWORD dst_unused:UNUSED_PAD src0_sel:DWORD src1_sel:WORD_1
	v_mul_f16_sdwa v66, v61, v105 dst_sel:DWORD dst_unused:UNUSED_PAD src0_sel:DWORD src1_sel:WORD_1
	v_fmac_f16_e32 v69, v60, v102
	v_fmac_f16_e32 v81, v61, v105
	v_add_f16_e32 v61, v67, v68
	v_mul_f16_sdwa v64, v62, v103 dst_sel:DWORD dst_unused:UNUSED_PAD src0_sel:DWORD src1_sel:WORD_1
	v_mul_f16_sdwa v13, v63, v104 dst_sel:DWORD dst_unused:UNUSED_PAD src0_sel:DWORD src1_sel:WORD_1
	v_fmac_f16_e32 v98, 0x34f2, v95
	v_fmac_f16_e32 v93, 0x34f2, v95
	v_fma_f16 v60, v109, v102, -v65
	v_fma_f16 v40, v40, v105, -v66
	v_fma_f16 v88, -0.5, v61, v53
	v_sub_f16_e32 v61, v69, v67
	v_sub_f16_e32 v95, v81, v68
	v_add_f16_e32 v12, v12, v85
	v_fma_f16 v64, v106, v103, -v64
	v_fma_f16 v13, v113, v104, -v13
	v_sub_f16_e32 v100, v85, v83
	v_add_f16_e32 v95, v61, v95
	v_add_f16_e32 v61, v60, v40
	v_sub_f16_e32 v63, v60, v64
	v_sub_f16_e32 v65, v40, v13
	v_add_f16_e32 v83, v83, v12
	v_add_f16_e32 v12, v69, v81
	;; [unrolled: 1-line block ×3, first 2 shown]
	v_fmac_f16_e32 v101, 0x38b4, v91
	v_fmac_f16_e32 v92, 0xb8b4, v91
	v_sub_f16_e32 v91, v67, v68
	v_fma_f16 v100, -0.5, v61, v94
	v_add_f16_e32 v99, v63, v65
	v_sub_f16_e32 v61, v64, v60
	v_fma_f16 v102, -0.5, v12, v53
	v_sub_f16_e32 v12, v13, v40
	v_sub_f16_e32 v63, v67, v69
	;; [unrolled: 1-line block ×4, first 2 shown]
	v_fmamk_f16 v103, v91, 0x3b9c, v100
	v_fmac_f16_e32 v100, 0xbb9c, v91
	v_sub_f16_e32 v66, v60, v40
	v_add_f16_e32 v12, v61, v12
	v_add_f16_e32 v65, v63, v65
	;; [unrolled: 1-line block ×3, first 2 shown]
	v_mad_u64_u32 v[60:61], null, s2, v36, 0
	v_fmac_f16_e32 v101, 0x34f2, v97
	v_fmac_f16_e32 v92, 0x34f2, v97
	v_add_f16_e32 v85, v64, v13
	v_sub_f16_e32 v97, v64, v13
	v_fmac_f16_e32 v103, 0xb8b4, v62
	v_fmac_f16_e32 v100, 0x38b4, v62
	v_add_f16_e32 v63, v64, v63
	v_fma_f16 v85, -0.5, v85, v94
	v_fmamk_f16 v104, v97, 0xbb9c, v102
	v_fmac_f16_e32 v102, 0x3b9c, v97
	v_fmac_f16_e32 v103, 0x34f2, v12
	;; [unrolled: 1-line block ×3, first 2 shown]
	v_mov_b32_e32 v12, v61
	v_add_f16_e32 v53, v53, v69
	v_fmac_f16_e32 v90, 0x34f2, v89
	v_fmac_f16_e32 v86, 0x34f2, v89
	v_fmamk_f16 v89, v62, 0xbb9c, v85
	v_fmac_f16_e32 v104, 0x38b4, v66
	v_fmac_f16_e32 v102, 0xb8b4, v66
	;; [unrolled: 1-line block ×3, first 2 shown]
	v_add_f16_e32 v61, v13, v63
	v_mad_u64_u32 v[12:13], null, s3, v36, v[12:13]
	v_mad_u64_u32 v[62:63], null, s2, v38, 0
	v_add_f16_e32 v53, v53, v67
	v_fmac_f16_e32 v104, 0x34f2, v65
	v_fmac_f16_e32 v102, 0x34f2, v65
	v_mad_u64_u32 v[64:65], null, s2, v37, 0
	v_add_f16_e32 v13, v53, v68
	v_add_f16_e32 v40, v40, v61
	v_mov_b32_e32 v61, v12
	v_mov_b32_e32 v36, v63
	v_add_co_u32 v12, vcc_lo, s12, v20
	v_fmamk_f16 v96, v66, 0x3b9c, v88
	v_fmac_f16_e32 v88, 0xbb9c, v66
	v_add_f16_e32 v53, v81, v13
	v_add_co_ci_u32_e32 v13, vcc_lo, s13, v21, vcc_lo
	v_lshlrev_b64 v[20:21], 2, v[60:61]
	v_mad_u64_u32 v[60:61], null, s3, v38, v[36:37]
	v_mov_b32_e32 v36, v65
	v_mad_u64_u32 v[66:67], null, s2, v35, 0
	v_pack_b32_f16 v38, v53, v40
	v_add_co_u32 v20, vcc_lo, v12, v20
	v_mad_u64_u32 v[36:37], null, s3, v37, v[36:37]
	v_add_co_ci_u32_e32 v21, vcc_lo, v13, v21, vcc_lo
	v_mov_b32_e32 v37, v67
	v_mov_b32_e32 v63, v60
	v_fmac_f16_e32 v85, 0x38b4, v91
	v_fmac_f16_e32 v88, 0xb8b4, v97
	v_mov_b32_e32 v65, v36
	v_mad_u64_u32 v[35:36], null, s3, v35, v[37:38]
	v_mad_u64_u32 v[36:37], null, s2, v34, 0
	global_store_dword v[20:21], v38, off
	v_lshlrev_b64 v[20:21], 2, v[62:63]
	v_mad_u64_u32 v[62:63], null, s2, v31, 0
	v_mov_b32_e32 v67, v35
	v_lshlrev_b64 v[60:61], 2, v[64:65]
	v_mov_b32_e32 v35, v37
	v_fmac_f16_e32 v85, 0x34f2, v99
	v_fmac_f16_e32 v88, 0x34f2, v95
	v_add_co_u32 v20, vcc_lo, v12, v20
	v_mad_u64_u32 v[34:35], null, s3, v34, v[35:36]
	v_mad_u64_u32 v[64:65], null, s2, v33, 0
	v_add_co_ci_u32_e32 v21, vcc_lo, v13, v21, vcc_lo
	v_mov_b32_e32 v35, v63
	v_add_co_u32 v60, vcc_lo, v12, v60
	v_lshlrev_b64 v[37:38], 2, v[66:67]
	v_pack_b32_f16 v40, v88, v85
	v_add_co_ci_u32_e32 v61, vcc_lo, v13, v61, vcc_lo
	v_pack_b32_f16 v53, v102, v100
	v_mad_u64_u32 v[68:69], null, s3, v31, v[35:36]
	v_add_co_u32 v66, vcc_lo, v12, v37
	v_mov_b32_e32 v37, v34
	global_store_dword v[20:21], v40, off
	global_store_dword v[60:61], v53, off
	v_mov_b32_e32 v20, v65
	v_fmac_f16_e32 v89, 0xb8b4, v91
	v_mov_b32_e32 v63, v68
	v_lshlrev_b64 v[34:35], 2, v[36:37]
	v_mad_u64_u32 v[36:37], null, s2, v32, 0
	v_mad_u64_u32 v[20:21], null, s3, v33, v[20:21]
	v_lshlrev_b64 v[60:61], 2, v[62:63]
	v_mad_u64_u32 v[62:63], null, s2, v30, 0
	v_fmac_f16_e32 v96, 0x38b4, v97
	v_mul_hi_u32 v53, 0x44d72045, v28
	v_add_co_ci_u32_e32 v67, vcc_lo, v13, v38, vcc_lo
	v_mov_b32_e32 v65, v20
	v_mov_b32_e32 v20, v37
	v_add_co_u32 v33, vcc_lo, v12, v34
	v_fmac_f16_e32 v89, 0x34f2, v99
	v_lshlrev_b64 v[37:38], 2, v[64:65]
	v_mad_u64_u32 v[20:21], null, s3, v32, v[20:21]
	v_fmac_f16_e32 v96, 0x34f2, v95
	v_pack_b32_f16 v31, v104, v103
	v_mov_b32_e32 v21, v63
	v_add_co_ci_u32_e32 v34, vcc_lo, v13, v35, vcc_lo
	v_add_co_u32 v60, vcc_lo, v12, v60
	v_add_co_ci_u32_e32 v61, vcc_lo, v13, v61, vcc_lo
	global_store_dword v[66:67], v31, off
	v_pack_b32_f16 v35, v96, v89
	v_add_co_u32 v31, vcc_lo, v12, v37
	v_mad_u64_u32 v[63:64], null, s3, v30, v[21:22]
	v_lshrrev_b32_e32 v21, 5, v53
	v_pack_b32_f16 v40, v83, v80
	v_add_co_ci_u32_e32 v32, vcc_lo, v13, v38, vcc_lo
	v_pack_b32_f16 v38, v86, v82
	v_mad_u64_u32 v[64:65], null, s2, v29, 0
	global_store_dword v[33:34], v35, off
	global_store_dword v[60:61], v40, off
	;; [unrolled: 1-line block ×3, first 2 shown]
	v_mad_u32_u24 v38, 0x1dc, v21, v28
	v_mov_b32_e32 v37, v20
	v_lshlrev_b64 v[32:33], 2, v[62:63]
	v_pack_b32_f16 v34, v92, v93
	v_pack_b32_f16 v40, v90, v87
	v_mov_b32_e32 v28, v65
	v_mad_u64_u32 v[30:31], null, s2, v38, 0
	v_lshlrev_b64 v[20:21], 2, v[36:37]
	v_add_nc_u32_e32 v36, 0xee, v38
	v_mad_u64_u32 v[28:29], null, s3, v29, v[28:29]
	v_add_nc_u32_e32 v53, 0x165, v38
	v_pack_b32_f16 v59, v75, v59
	v_mov_b32_e32 v29, v31
	v_add_co_u32 v20, vcc_lo, v12, v20
	v_add_co_ci_u32_e32 v21, vcc_lo, v13, v21, vcc_lo
	v_mov_b32_e32 v65, v28
	v_mad_u64_u32 v[28:29], null, s3, v38, v[29:30]
	v_add_co_u32 v31, vcc_lo, v12, v32
	v_add_co_ci_u32_e32 v32, vcc_lo, v13, v33, vcc_lo
	v_pack_b32_f16 v33, v101, v98
	global_store_dword v[20:21], v34, off
	v_add_nc_u32_e32 v34, 0x77, v38
	v_lshlrev_b64 v[20:21], 2, v[64:65]
	v_fmamk_f16 v49, v135, 0xbb9c, v43
	global_store_dword v[31:32], v33, off
	v_mov_b32_e32 v31, v28
	v_mad_u64_u32 v[32:33], null, s2, v34, 0
	v_mad_u64_u32 v[28:29], null, s2, v36, 0
	v_lshlrev_b64 v[30:31], 2, v[30:31]
	v_add_co_u32 v20, vcc_lo, v12, v20
	v_add_co_ci_u32_e32 v21, vcc_lo, v13, v21, vcc_lo
	v_mad_u64_u32 v[33:34], null, s3, v34, v[33:34]
	v_add_co_u32 v30, vcc_lo, v12, v30
	v_mad_u64_u32 v[34:35], null, s2, v53, 0
	v_add_co_ci_u32_e32 v31, vcc_lo, v13, v31, vcc_lo
	v_mad_u64_u32 v[36:37], null, s3, v36, v[29:30]
	v_pack_b32_f16 v29, v84, v79
	v_mul_hi_u32 v37, 0x44d72045, v27
	global_store_dword v[20:21], v40, off
	v_mov_b32_e32 v20, v35
	v_fmac_f16_e32 v43, 0x3b9c, v135
	global_store_dword v[30:31], v29, off
	v_mov_b32_e32 v29, v36
	v_add_nc_u32_e32 v36, 0x1dc, v38
	v_lshlrev_b64 v[30:31], 2, v[32:33]
	v_mad_u64_u32 v[20:21], null, s3, v53, v[20:21]
	v_lshlrev_b64 v[28:29], 2, v[28:29]
	v_mad_u64_u32 v[32:33], null, s2, v36, 0
	v_lshrrev_b32_e32 v21, 5, v37
	v_add_co_u32 v30, vcc_lo, v12, v30
	v_add_co_ci_u32_e32 v31, vcc_lo, v13, v31, vcc_lo
	v_mad_u32_u24 v40, 0x1dc, v21, v27
	v_add_co_u32 v27, vcc_lo, v12, v28
	v_mov_b32_e32 v35, v20
	v_add_co_ci_u32_e32 v28, vcc_lo, v13, v29, vcc_lo
	v_mov_b32_e32 v29, v33
	v_add_nc_u32_e32 v64, 0x77, v40
	v_lshlrev_b64 v[33:34], 2, v[34:35]
	v_pack_b32_f16 v38, v72, v71
	v_mad_u64_u32 v[20:21], null, s2, v40, 0
	v_mad_u64_u32 v[35:36], null, s3, v36, v[29:30]
	;; [unrolled: 1-line block ×3, first 2 shown]
	v_add_co_u32 v60, vcc_lo, v12, v33
	v_pack_b32_f16 v53, v78, v77
	global_store_dword v[30:31], v38, off
	global_store_dword v[27:28], v53, off
	v_mov_b32_e32 v33, v35
	v_mov_b32_e32 v27, v37
	v_mad_u64_u32 v[62:63], null, s3, v40, v[21:22]
	v_add_co_ci_u32_e32 v61, vcc_lo, v13, v34, vcc_lo
	v_lshlrev_b64 v[28:29], 2, v[32:33]
	v_pack_b32_f16 v21, v73, v70
	v_add_nc_u32_e32 v33, 0xee, v40
	v_pack_b32_f16 v38, v15, v14
	v_add_nc_u32_e32 v53, 0x165, v40
	v_add_nc_u32_e32 v40, 0x1dc, v40
	v_mad_u64_u32 v[30:31], null, s3, v64, v[27:28]
	global_store_dword v[60:61], v21, off
	v_mov_b32_e32 v21, v62
	v_mad_u64_u32 v[14:15], null, s2, v33, 0
	v_add_co_u32 v27, vcc_lo, v12, v28
	v_mov_b32_e32 v37, v30
	v_lshlrev_b64 v[20:21], 2, v[20:21]
	v_add_co_ci_u32_e32 v28, vcc_lo, v13, v29, vcc_lo
	v_mad_u64_u32 v[31:32], null, s2, v53, 0
	v_lshlrev_b64 v[29:30], 2, v[36:37]
	v_add_co_u32 v20, vcc_lo, v12, v20
	v_mad_u64_u32 v[33:34], null, s3, v33, v[15:16]
	v_mad_u64_u32 v[34:35], null, s2, v40, 0
	v_add_co_ci_u32_e32 v21, vcc_lo, v13, v21, vcc_lo
	v_add_co_u32 v29, vcc_lo, v12, v29
	v_pack_b32_f16 v60, v76, v74
	v_add_co_ci_u32_e32 v30, vcc_lo, v13, v30, vcc_lo
	v_mov_b32_e32 v15, v32
	v_mul_hi_u32 v32, 0x44d72045, v26
	global_store_dword v[27:28], v38, off
	global_store_dword v[20:21], v60, off
	;; [unrolled: 1-line block ×3, first 2 shown]
	v_mov_b32_e32 v20, v35
	v_mad_u64_u32 v[36:37], null, s3, v53, v[15:16]
	v_mov_b32_e32 v15, v33
	v_pack_b32_f16 v38, v56, v55
	v_mad_u64_u32 v[20:21], null, s3, v40, v[20:21]
	v_lshrrev_b32_e32 v27, 5, v32
	v_lshlrev_b64 v[14:15], 2, v[14:15]
	v_mov_b32_e32 v32, v36
	v_pack_b32_f16 v40, v58, v57
	v_fmac_f16_e32 v43, 0xb8b4, v134
	v_mad_u32_u24 v37, 0x1dc, v27, v26
	v_mov_b32_e32 v35, v20
	v_lshlrev_b64 v[26:27], 2, v[31:32]
	v_add_co_u32 v14, vcc_lo, v12, v14
	v_mad_u64_u32 v[28:29], null, s2, v37, 0
	v_lshlrev_b64 v[30:31], 2, v[34:35]
	v_add_nc_u32_e32 v36, 0x77, v37
	v_add_nc_u32_e32 v53, 0xee, v37
	v_add_co_ci_u32_e32 v15, vcc_lo, v13, v15, vcc_lo
	v_add_co_u32 v26, vcc_lo, v12, v26
	v_mad_u64_u32 v[32:33], null, s3, v37, v[29:30]
	v_mad_u64_u32 v[20:21], null, s2, v36, 0
	;; [unrolled: 1-line block ×3, first 2 shown]
	v_add_co_ci_u32_e32 v27, vcc_lo, v13, v27, vcc_lo
	v_add_co_u32 v30, vcc_lo, v12, v30
	v_mad_u64_u32 v[35:36], null, s3, v36, v[21:22]
	global_store_dword v[14:15], v38, off
	global_store_dword v[26:27], v40, off
	v_mov_b32_e32 v14, v34
	v_add_co_ci_u32_e32 v31, vcc_lo, v13, v31, vcc_lo
	v_pack_b32_f16 v21, v54, v52
	v_mov_b32_e32 v29, v32
	v_mad_u64_u32 v[14:15], null, s3, v53, v[14:15]
	v_add_nc_u32_e32 v32, 0x165, v37
	global_store_dword v[30:31], v21, off
	v_mul_hi_u32 v30, 0x44d72045, v25
	v_mov_b32_e32 v21, v35
	v_add_nc_u32_e32 v35, 0x1dc, v37
	v_lshlrev_b64 v[26:27], 2, v[28:29]
	v_mov_b32_e32 v34, v14
	v_mad_u64_u32 v[14:15], null, s2, v32, 0
	v_mad_u64_u32 v[28:29], null, s2, v35, 0
	v_lshrrev_b32_e32 v36, 5, v30
	v_lshlrev_b64 v[20:21], 2, v[20:21]
	v_add_co_u32 v26, vcc_lo, v12, v26
	v_lshlrev_b64 v[30:31], 2, v[33:34]
	v_mad_u32_u24 v40, 0x1dc, v36, v25
	v_mad_u64_u32 v[32:33], null, s3, v32, v[15:16]
	v_mov_b32_e32 v15, v29
	v_add_f16_e32 v50, v138, v50
	v_add_co_ci_u32_e32 v27, vcc_lo, v13, v27, vcc_lo
	v_fmac_f16_e32 v43, 0x34f2, v116
	v_add_co_u32 v20, vcc_lo, v12, v20
	v_mad_u64_u32 v[33:34], null, s2, v40, 0
	v_add_co_ci_u32_e32 v21, vcc_lo, v13, v21, vcc_lo
	v_mad_u64_u32 v[35:36], null, s3, v35, v[15:16]
	v_pack_b32_f16 v38, v51, v50
	v_add_co_u32 v29, vcc_lo, v12, v30
	v_pack_b32_f16 v37, v47, v46
	v_add_co_ci_u32_e32 v30, vcc_lo, v13, v31, vcc_lo
	v_pack_b32_f16 v25, v43, v42
	global_store_dword v[26:27], v38, off
	global_store_dword v[20:21], v37, off
	v_mov_b32_e32 v20, v34
	v_mov_b32_e32 v15, v32
	v_add_nc_u32_e32 v32, 0x77, v40
	global_store_dword v[29:30], v25, off
	v_mov_b32_e32 v29, v35
	v_mad_u64_u32 v[20:21], null, s3, v40, v[20:21]
	v_lshlrev_b64 v[14:15], 2, v[14:15]
	v_add_nc_u32_e32 v36, 0xee, v40
	v_lshlrev_b64 v[25:26], 2, v[28:29]
	v_mad_u64_u32 v[27:28], null, s2, v32, 0
	v_fmac_f16_e32 v49, 0x38b4, v134
	v_add_co_u32 v14, vcc_lo, v12, v14
	v_mov_b32_e32 v34, v20
	v_mad_u64_u32 v[30:31], null, s2, v36, 0
	v_add_co_ci_u32_e32 v15, vcc_lo, v13, v15, vcc_lo
	v_add_co_u32 v20, vcc_lo, v12, v25
	v_mov_b32_e32 v25, v28
	v_add_nc_u32_e32 v43, 0x165, v40
	v_lshlrev_b64 v[28:29], 2, v[33:34]
	v_fmac_f16_e32 v49, 0x34f2, v116
	v_add_co_ci_u32_e32 v21, vcc_lo, v13, v26, vcc_lo
	v_mad_u64_u32 v[25:26], null, s3, v32, v[25:26]
	v_mov_b32_e32 v26, v31
	v_mad_u64_u32 v[34:35], null, s2, v43, 0
	v_pack_b32_f16 v38, v49, v48
	v_add_co_u32 v32, vcc_lo, v12, v28
	v_pack_b32_f16 v42, v45, v44
	v_add_co_ci_u32_e32 v33, vcc_lo, v13, v29, vcc_lo
	v_pack_b32_f16 v29, v41, v39
	v_mad_u64_u32 v[36:37], null, s3, v36, v[26:27]
	global_store_dword v[14:15], v38, off
	global_store_dword v[20:21], v42, off
	;; [unrolled: 1-line block ×3, first 2 shown]
	v_mov_b32_e32 v14, v35
	v_add_nc_u32_e32 v29, 0x1dc, v40
	v_fmamk_f16 v17, v128, 0x3b9c, v23
	v_fmac_f16_e32 v23, 0xbb9c, v128
	v_mov_b32_e32 v28, v25
	v_fmamk_f16 v18, v122, 0x3b9c, v10
	v_fmamk_f16 v19, v129, 0xbb9c, v11
	v_fmac_f16_e32 v10, 0xbb9c, v122
	v_fmac_f16_e32 v11, 0x3b9c, v129
	v_mov_b32_e32 v31, v36
	v_mad_u64_u32 v[14:15], null, s3, v43, v[14:15]
	v_mad_u64_u32 v[25:26], null, s2, v29, 0
	v_fmac_f16_e32 v23, 0xb8b4, v129
	v_lshlrev_b64 v[20:21], 2, v[27:28]
	v_fmac_f16_e32 v10, 0x38b4, v117
	v_fmac_f16_e32 v11, 0xb8b4, v128
	v_lshlrev_b64 v[27:28], 2, v[30:31]
	v_mul_hi_u32 v15, 0x44d72045, v24
	v_fmac_f16_e32 v23, 0x34f2, v115
	v_fmac_f16_e32 v10, 0x34f2, v123
	;; [unrolled: 1-line block ×3, first 2 shown]
	v_add_co_u32 v20, vcc_lo, v12, v20
	v_mov_b32_e32 v35, v14
	v_mov_b32_e32 v14, v26
	v_add_co_ci_u32_e32 v21, vcc_lo, v13, v21, vcc_lo
	v_pack_b32_f16 v30, v23, v22
	v_add_co_u32 v22, vcc_lo, v12, v27
	v_add_co_ci_u32_e32 v23, vcc_lo, v13, v28, vcc_lo
	v_lshlrev_b64 v[26:27], 2, v[34:35]
	v_pack_b32_f16 v28, v11, v10
	v_mad_u64_u32 v[10:11], null, s3, v29, v[14:15]
	v_fmac_f16_e32 v18, 0xb8b4, v117
	v_fmac_f16_e32 v19, 0x38b4, v128
	v_lshrrev_b32_e32 v11, 5, v15
	v_add_co_u32 v14, vcc_lo, v12, v26
	v_fmac_f16_e32 v18, 0x34f2, v123
	v_fmac_f16_e32 v19, 0x34f2, v114
	v_add_co_ci_u32_e32 v15, vcc_lo, v13, v27, vcc_lo
	v_mad_u32_u24 v27, 0x1dc, v11, v24
	v_mov_b32_e32 v26, v10
	v_pack_b32_f16 v18, v19, v18
	v_fmac_f16_e32 v17, 0x38b4, v129
	global_store_dword v[20:21], v30, off
	global_store_dword v[22:23], v28, off
	;; [unrolled: 1-line block ×3, first 2 shown]
	v_add_nc_u32_e32 v24, 0x77, v27
	v_lshlrev_b64 v[10:11], 2, v[25:26]
	v_add_nc_u32_e32 v25, 0xee, v27
	v_mad_u64_u32 v[14:15], null, s2, v27, 0
	v_mad_u64_u32 v[18:19], null, s2, v24, 0
	;; [unrolled: 1-line block ×3, first 2 shown]
	v_fmac_f16_e32 v17, 0x34f2, v115
	v_add_nc_u32_e32 v28, 0x165, v27
	v_mad_u64_u32 v[22:23], null, s3, v27, v[15:16]
	v_add_co_u32 v10, vcc_lo, v12, v10
	v_pack_b32_f16 v26, v17, v16
	v_mad_u64_u32 v[16:17], null, s3, v24, v[19:20]
	v_mov_b32_e32 v17, v21
	v_mov_b32_e32 v15, v22
	v_add_co_ci_u32_e32 v11, vcc_lo, v13, v11, vcc_lo
	v_mad_u64_u32 v[23:24], null, s2, v28, 0
	v_mad_u64_u32 v[21:22], null, s3, v25, v[17:18]
	v_add_nc_u32_e32 v22, 0x1dc, v27
	global_store_dword v[10:11], v26, off
	v_lshlrev_b64 v[10:11], 2, v[14:15]
	v_mov_b32_e32 v19, v16
	v_mov_b32_e32 v14, v24
	v_mad_u64_u32 v[15:16], null, s2, v22, 0
	v_fmac_f16_e32 v7, 0x34f2, v121
	v_add_co_u32 v10, vcc_lo, v12, v10
	v_add_co_ci_u32_e32 v11, vcc_lo, v13, v11, vcc_lo
	v_fmac_f16_e32 v1, 0x34f2, v121
	v_mad_u64_u32 v[24:25], null, s3, v28, v[14:15]
	v_mov_b32_e32 v14, v16
	v_pack_b32_f16 v25, v9, v8
	v_lshlrev_b64 v[8:9], 2, v[18:19]
	v_lshlrev_b64 v[17:18], 2, v[20:21]
	v_pack_b32_f16 v4, v5, v4
	v_mad_u64_u32 v[19:20], null, s3, v22, v[14:15]
	v_pack_b32_f16 v14, v3, v2
	v_add_co_u32 v8, vcc_lo, v12, v8
	v_lshlrev_b64 v[2:3], 2, v[23:24]
	v_add_co_ci_u32_e32 v9, vcc_lo, v13, v9, vcc_lo
	v_mov_b32_e32 v16, v19
	v_add_co_u32 v17, vcc_lo, v12, v17
	v_pack_b32_f16 v19, v7, v6
	v_add_co_ci_u32_e32 v18, vcc_lo, v13, v18, vcc_lo
	v_lshlrev_b64 v[6:7], 2, v[15:16]
	v_add_co_u32 v2, vcc_lo, v12, v2
	v_add_co_ci_u32_e32 v3, vcc_lo, v13, v3, vcc_lo
	v_pack_b32_f16 v15, v1, v0
	v_add_co_u32 v0, vcc_lo, v12, v6
	v_add_co_ci_u32_e32 v1, vcc_lo, v13, v7, vcc_lo
	global_store_dword v[10:11], v25, off
	global_store_dword v[8:9], v14, off
	global_store_dword v[17:18], v19, off
	global_store_dword v[2:3], v15, off
	global_store_dword v[0:1], v4, off
.LBB0_22:
	s_endpgm
	.section	.rodata,"a",@progbits
	.p2align	6, 0x0
	.amdhsa_kernel fft_rtc_back_len595_factors_7_17_5_wgs_51_tpt_17_halfLds_half_ip_CI_sbrr_dirReg
		.amdhsa_group_segment_fixed_size 0
		.amdhsa_private_segment_fixed_size 0
		.amdhsa_kernarg_size 88
		.amdhsa_user_sgpr_count 6
		.amdhsa_user_sgpr_private_segment_buffer 1
		.amdhsa_user_sgpr_dispatch_ptr 0
		.amdhsa_user_sgpr_queue_ptr 0
		.amdhsa_user_sgpr_kernarg_segment_ptr 1
		.amdhsa_user_sgpr_dispatch_id 0
		.amdhsa_user_sgpr_flat_scratch_init 0
		.amdhsa_user_sgpr_private_segment_size 0
		.amdhsa_wavefront_size32 1
		.amdhsa_uses_dynamic_stack 0
		.amdhsa_system_sgpr_private_segment_wavefront_offset 0
		.amdhsa_system_sgpr_workgroup_id_x 1
		.amdhsa_system_sgpr_workgroup_id_y 0
		.amdhsa_system_sgpr_workgroup_id_z 0
		.amdhsa_system_sgpr_workgroup_info 0
		.amdhsa_system_vgpr_workitem_id 0
		.amdhsa_next_free_vgpr 215
		.amdhsa_next_free_sgpr 23
		.amdhsa_reserve_vcc 1
		.amdhsa_reserve_flat_scratch 0
		.amdhsa_float_round_mode_32 0
		.amdhsa_float_round_mode_16_64 0
		.amdhsa_float_denorm_mode_32 3
		.amdhsa_float_denorm_mode_16_64 3
		.amdhsa_dx10_clamp 1
		.amdhsa_ieee_mode 1
		.amdhsa_fp16_overflow 0
		.amdhsa_workgroup_processor_mode 1
		.amdhsa_memory_ordered 1
		.amdhsa_forward_progress 0
		.amdhsa_shared_vgpr_count 0
		.amdhsa_exception_fp_ieee_invalid_op 0
		.amdhsa_exception_fp_denorm_src 0
		.amdhsa_exception_fp_ieee_div_zero 0
		.amdhsa_exception_fp_ieee_overflow 0
		.amdhsa_exception_fp_ieee_underflow 0
		.amdhsa_exception_fp_ieee_inexact 0
		.amdhsa_exception_int_div_zero 0
	.end_amdhsa_kernel
	.text
.Lfunc_end0:
	.size	fft_rtc_back_len595_factors_7_17_5_wgs_51_tpt_17_halfLds_half_ip_CI_sbrr_dirReg, .Lfunc_end0-fft_rtc_back_len595_factors_7_17_5_wgs_51_tpt_17_halfLds_half_ip_CI_sbrr_dirReg
                                        ; -- End function
	.section	.AMDGPU.csdata,"",@progbits
; Kernel info:
; codeLenInByte = 30812
; NumSgprs: 25
; NumVgprs: 215
; ScratchSize: 0
; MemoryBound: 0
; FloatMode: 240
; IeeeMode: 1
; LDSByteSize: 0 bytes/workgroup (compile time only)
; SGPRBlocks: 3
; VGPRBlocks: 26
; NumSGPRsForWavesPerEU: 25
; NumVGPRsForWavesPerEU: 215
; Occupancy: 4
; WaveLimiterHint : 1
; COMPUTE_PGM_RSRC2:SCRATCH_EN: 0
; COMPUTE_PGM_RSRC2:USER_SGPR: 6
; COMPUTE_PGM_RSRC2:TRAP_HANDLER: 0
; COMPUTE_PGM_RSRC2:TGID_X_EN: 1
; COMPUTE_PGM_RSRC2:TGID_Y_EN: 0
; COMPUTE_PGM_RSRC2:TGID_Z_EN: 0
; COMPUTE_PGM_RSRC2:TIDIG_COMP_CNT: 0
	.text
	.p2alignl 6, 3214868480
	.fill 48, 4, 3214868480
	.type	__hip_cuid_9de953f141ad432b,@object ; @__hip_cuid_9de953f141ad432b
	.section	.bss,"aw",@nobits
	.globl	__hip_cuid_9de953f141ad432b
__hip_cuid_9de953f141ad432b:
	.byte	0                               ; 0x0
	.size	__hip_cuid_9de953f141ad432b, 1

	.ident	"AMD clang version 19.0.0git (https://github.com/RadeonOpenCompute/llvm-project roc-6.4.0 25133 c7fe45cf4b819c5991fe208aaa96edf142730f1d)"
	.section	".note.GNU-stack","",@progbits
	.addrsig
	.addrsig_sym __hip_cuid_9de953f141ad432b
	.amdgpu_metadata
---
amdhsa.kernels:
  - .args:
      - .actual_access:  read_only
        .address_space:  global
        .offset:         0
        .size:           8
        .value_kind:     global_buffer
      - .offset:         8
        .size:           8
        .value_kind:     by_value
      - .actual_access:  read_only
        .address_space:  global
        .offset:         16
        .size:           8
        .value_kind:     global_buffer
      - .actual_access:  read_only
        .address_space:  global
        .offset:         24
        .size:           8
        .value_kind:     global_buffer
      - .offset:         32
        .size:           8
        .value_kind:     by_value
      - .actual_access:  read_only
        .address_space:  global
        .offset:         40
        .size:           8
        .value_kind:     global_buffer
      - .actual_access:  read_only
        .address_space:  global
        .offset:         48
        .size:           8
        .value_kind:     global_buffer
      - .offset:         56
        .size:           4
        .value_kind:     by_value
      - .actual_access:  read_only
        .address_space:  global
        .offset:         64
        .size:           8
        .value_kind:     global_buffer
      - .actual_access:  read_only
        .address_space:  global
        .offset:         72
        .size:           8
        .value_kind:     global_buffer
      - .address_space:  global
        .offset:         80
        .size:           8
        .value_kind:     global_buffer
    .group_segment_fixed_size: 0
    .kernarg_segment_align: 8
    .kernarg_segment_size: 88
    .language:       OpenCL C
    .language_version:
      - 2
      - 0
    .max_flat_workgroup_size: 51
    .name:           fft_rtc_back_len595_factors_7_17_5_wgs_51_tpt_17_halfLds_half_ip_CI_sbrr_dirReg
    .private_segment_fixed_size: 0
    .sgpr_count:     25
    .sgpr_spill_count: 0
    .symbol:         fft_rtc_back_len595_factors_7_17_5_wgs_51_tpt_17_halfLds_half_ip_CI_sbrr_dirReg.kd
    .uniform_work_group_size: 1
    .uses_dynamic_stack: false
    .vgpr_count:     215
    .vgpr_spill_count: 0
    .wavefront_size: 32
    .workgroup_processor_mode: 1
amdhsa.target:   amdgcn-amd-amdhsa--gfx1030
amdhsa.version:
  - 1
  - 2
...

	.end_amdgpu_metadata
